;; amdgpu-corpus repo=ROCm/rocFFT kind=compiled arch=gfx950 opt=O3
	.text
	.amdgcn_target "amdgcn-amd-amdhsa--gfx950"
	.amdhsa_code_object_version 6
	.protected	bluestein_single_back_len1452_dim1_dp_op_CI_CI ; -- Begin function bluestein_single_back_len1452_dim1_dp_op_CI_CI
	.globl	bluestein_single_back_len1452_dim1_dp_op_CI_CI
	.p2align	8
	.type	bluestein_single_back_len1452_dim1_dp_op_CI_CI,@function
bluestein_single_back_len1452_dim1_dp_op_CI_CI: ; @bluestein_single_back_len1452_dim1_dp_op_CI_CI
; %bb.0:
	s_load_dwordx4 s[12:15], s[0:1], 0x28
	v_mul_u32_u24_e32 v1, 0x1f1, v0
	v_mov_b32_e32 v203, 0
	v_add_u32_sdwa v204, s2, v1 dst_sel:DWORD dst_unused:UNUSED_PAD src0_sel:DWORD src1_sel:WORD_1
	v_mov_b32_e32 v205, v203
	s_waitcnt lgkmcnt(0)
	v_cmp_gt_u64_e32 vcc, s[12:13], v[204:205]
	s_and_saveexec_b64 s[2:3], vcc
	s_cbranch_execz .LBB0_18
; %bb.1:
	s_load_dwordx4 s[4:7], s[0:1], 0x18
	s_load_dwordx4 s[8:11], s[0:1], 0x0
	v_mov_b32_e32 v2, s14
	v_mov_b32_e32 v3, s15
	s_movk_i32 s2, 0x84
	s_waitcnt lgkmcnt(0)
	s_load_dwordx4 s[12:15], s[4:5], 0x0
	v_mul_lo_u16_sdwa v1, v1, s2 dst_sel:DWORD dst_unused:UNUSED_PAD src0_sel:WORD_1 src1_sel:DWORD
	v_sub_u16_e32 v202, v0, v1
	v_mov_b32_e32 v86, 0x840
	v_lshlrev_b32_e32 v200, 4, v202
	s_waitcnt lgkmcnt(0)
	v_mad_u64_u32 v[0:1], s[2:3], s14, v204, 0
	v_mov_b32_e32 v4, v1
	v_mad_u64_u32 v[4:5], s[2:3], s15, v204, v[4:5]
	v_mov_b32_e32 v1, v4
	v_mad_u64_u32 v[4:5], s[2:3], s12, v202, 0
	v_mov_b32_e32 v6, v5
	v_mad_u64_u32 v[6:7], s[2:3], s13, v202, v[6:7]
	v_mov_b32_e32 v5, v6
	v_lshl_add_u64 v[0:1], v[0:1], 4, v[2:3]
	v_lshl_add_u64 v[0:1], v[4:5], 4, v[0:1]
	v_mad_u64_u32 v[4:5], s[2:3], s12, v86, v[0:1]
	s_mul_i32 s2, s13, 0x840
	global_load_dwordx4 v[44:47], v[0:1], off
	v_add_u32_e32 v5, s2, v5
	v_mov_b32_e32 v201, v203
	global_load_dwordx4 v[16:19], v200, s[8:9]
	global_load_dwordx4 v[0:3], v200, s[8:9] offset:2112
	v_mad_u64_u32 v[6:7], s[4:5], s12, v86, v[4:5]
	v_lshl_add_u64 v[36:37], s[8:9], 0, v[200:201]
	v_add_u32_e32 v7, s2, v7
	s_movk_i32 s3, 0x1000
	global_load_dwordx4 v[52:55], v[4:5], off
	global_load_dwordx4 v[48:51], v[6:7], off
	v_add_co_u32_e32 v4, vcc, s3, v36
	v_mad_u64_u32 v[6:7], s[4:5], s12, v86, v[6:7]
	s_nop 0
	v_addc_co_u32_e32 v5, vcc, 0, v37, vcc
	v_add_u32_e32 v7, s2, v7
	global_load_dwordx4 v[20:23], v[4:5], off offset:128
	global_load_dwordx4 v[8:11], v[4:5], off offset:2240
	v_mad_u64_u32 v[4:5], s[4:5], s12, v86, v[6:7]
	v_add_u32_e32 v5, s2, v5
	s_movk_i32 s3, 0x2000
	global_load_dwordx4 v[60:63], v[6:7], off
	global_load_dwordx4 v[56:59], v[4:5], off
	v_add_co_u32_e32 v6, vcc, s3, v36
	v_mad_u64_u32 v[32:33], s[4:5], s12, v86, v[4:5]
	s_nop 0
	v_addc_co_u32_e32 v7, vcc, 0, v37, vcc
	v_add_u32_e32 v33, s2, v33
	s_movk_i32 s3, 0x3000
	global_load_dwordx4 v[28:31], v[6:7], off offset:256
	global_load_dwordx4 v[12:15], v[6:7], off offset:2368
	global_load_dwordx4 v[64:67], v[32:33], off
	v_add_co_u32_e32 v34, vcc, s3, v36
	v_mad_u64_u32 v[32:33], s[4:5], s12, v86, v[32:33]
	s_nop 0
	v_addc_co_u32_e32 v35, vcc, 0, v37, vcc
	v_add_u32_e32 v33, s2, v33
	global_load_dwordx4 v[4:7], v[34:35], off offset:384
	global_load_dwordx4 v[24:27], v[34:35], off offset:2496
	global_load_dwordx4 v[68:71], v[32:33], off
	v_mad_u64_u32 v[32:33], s[4:5], s12, v86, v[32:33]
	v_add_u32_e32 v33, s2, v33
	global_load_dwordx4 v[72:75], v[32:33], off
	v_mad_u64_u32 v[32:33], s[4:5], s12, v86, v[32:33]
	v_add_u32_e32 v33, s2, v33
	s_movk_i32 s3, 0x4000
	v_add_co_u32_e32 v38, vcc, s3, v36
	v_mad_u64_u32 v[84:85], s[4:5], s12, v86, v[32:33]
	s_nop 0
	v_addc_co_u32_e32 v39, vcc, 0, v37, vcc
	v_add_u32_e32 v85, s2, v85
	global_load_dwordx4 v[76:79], v[32:33], off
	global_load_dwordx4 v[80:83], v[84:85], off
	global_load_dwordx4 v[40:43], v[38:39], off offset:512
	s_nop 0
	global_load_dwordx4 v[32:35], v[38:39], off offset:2624
	v_mad_u64_u32 v[38:39], s[4:5], s12, v86, v[84:85]
	v_add_u32_e32 v39, s2, v39
	s_movk_i32 s2, 0x5000
	v_add_co_u32_e32 v36, vcc, s2, v36
	global_load_dwordx4 v[84:87], v[38:39], off
	s_nop 0
	v_addc_co_u32_e32 v37, vcc, 0, v37, vcc
	global_load_dwordx4 v[36:39], v[36:37], off offset:640
	s_load_dwordx4 s[4:7], s[6:7], 0x0
	s_mov_b32 s26, 0xf8bb580b
	s_mov_b32 s18, 0x43842ef
	;; [unrolled: 1-line block ×13, first 2 shown]
	s_waitcnt vmcnt(20)
	v_mul_f64 v[88:89], v[44:45], v[18:19]
	v_fma_f64 v[90:91], v[46:47], v[16:17], -v[88:89]
	v_mul_f64 v[88:89], v[46:47], v[18:19]
	v_fmac_f64_e32 v[88:89], v[44:45], v[16:17]
	ds_write_b128 v200, v[88:91]
	s_mov_b32 s29, 0xbfd207e7
	s_waitcnt vmcnt(18)
	v_mul_f64 v[44:45], v[52:53], v[2:3]
	v_fma_f64 v[46:47], v[54:55], v[0:1], -v[44:45]
	v_mul_f64 v[44:45], v[54:55], v[2:3]
	v_fmac_f64_e32 v[44:45], v[52:53], v[0:1]
	ds_write_b128 v200, v[44:47] offset:2112
	s_mov_b32 s24, 0x9bcd5057
	s_mov_b32 s15, 0x3feaeb8c
	;; [unrolled: 1-line block ×3, first 2 shown]
	s_waitcnt vmcnt(16)
	v_mul_f64 v[44:45], v[50:51], v[22:23]
	v_mul_f64 v[46:47], v[48:49], v[22:23]
	v_fmac_f64_e32 v[44:45], v[48:49], v[20:21]
	v_fma_f64 v[46:47], v[50:51], v[20:21], -v[46:47]
	ds_write_b128 v200, v[44:47] offset:4224
	s_waitcnt vmcnt(14)
	v_mul_f64 v[44:45], v[62:63], v[10:11]
	v_mul_f64 v[46:47], v[60:61], v[10:11]
	v_fmac_f64_e32 v[44:45], v[60:61], v[8:9]
	v_fma_f64 v[46:47], v[62:63], v[8:9], -v[46:47]
	ds_write_b128 v200, v[44:47] offset:6336
	s_mov_b32 s3, 0xbfc2375f
	s_mov_b32 s17, 0xbfe4f49e
	;; [unrolled: 1-line block ×3, first 2 shown]
	s_waitcnt vmcnt(12)
	v_mul_f64 v[44:45], v[58:59], v[30:31]
	v_mul_f64 v[46:47], v[56:57], v[30:31]
	v_fmac_f64_e32 v[44:45], v[56:57], v[28:29]
	v_fma_f64 v[46:47], v[58:59], v[28:29], -v[46:47]
	ds_write_b128 v200, v[44:47] offset:8448
	s_waitcnt vmcnt(10)
	v_mul_f64 v[44:45], v[66:67], v[14:15]
	v_mul_f64 v[46:47], v[64:65], v[14:15]
	v_fmac_f64_e32 v[44:45], v[64:65], v[12:13]
	v_fma_f64 v[46:47], v[66:67], v[12:13], -v[46:47]
	ds_write_b128 v200, v[44:47] offset:10560
	s_mov_b32 s35, 0x3fd207e7
	s_waitcnt vmcnt(7)
	v_mul_f64 v[44:45], v[70:71], v[6:7]
	v_mul_f64 v[46:47], v[68:69], v[6:7]
	v_fmac_f64_e32 v[44:45], v[68:69], v[4:5]
	v_fma_f64 v[46:47], v[70:71], v[4:5], -v[46:47]
	ds_write_b128 v200, v[44:47] offset:12672
	s_waitcnt vmcnt(6)
	v_mul_f64 v[44:45], v[74:75], v[26:27]
	v_mul_f64 v[46:47], v[72:73], v[26:27]
	v_fmac_f64_e32 v[44:45], v[72:73], v[24:25]
	v_fma_f64 v[46:47], v[74:75], v[24:25], -v[46:47]
	ds_write_b128 v200, v[44:47] offset:14784
	s_mov_b32 s34, s28
	s_mov_b32 s37, 0x3fefac9e
	;; [unrolled: 1-line block ×5, first 2 shown]
	s_waitcnt vmcnt(3)
	v_mul_f64 v[44:45], v[78:79], v[42:43]
	v_mul_f64 v[46:47], v[76:77], v[42:43]
	v_fmac_f64_e32 v[44:45], v[76:77], v[40:41]
	v_fma_f64 v[46:47], v[78:79], v[40:41], -v[46:47]
	ds_write_b128 v200, v[44:47] offset:16896
	s_waitcnt vmcnt(2)
	v_mul_f64 v[44:45], v[82:83], v[34:35]
	v_mul_f64 v[46:47], v[80:81], v[34:35]
	v_fmac_f64_e32 v[44:45], v[80:81], v[32:33]
	v_fma_f64 v[46:47], v[82:83], v[32:33], -v[46:47]
	ds_write_b128 v200, v[44:47] offset:19008
	;; [unrolled: 6-line block ×3, first 2 shown]
	s_waitcnt lgkmcnt(0)
	s_barrier
	ds_read_b128 v[48:51], v200
	ds_read_b128 v[72:75], v200 offset:2112
	ds_read_b128 v[84:87], v200 offset:4224
	;; [unrolled: 1-line block ×5, first 2 shown]
	s_waitcnt lgkmcnt(4)
	v_add_f64 v[44:45], v[48:49], v[72:73]
	ds_read_b128 v[56:59], v200 offset:12672
	ds_read_b128 v[68:71], v200 offset:14784
	v_add_f64 v[46:47], v[50:51], v[74:75]
	s_waitcnt lgkmcnt(5)
	v_add_f64 v[44:45], v[44:45], v[84:85]
	v_add_f64 v[46:47], v[46:47], v[86:87]
	s_waitcnt lgkmcnt(4)
	v_add_f64 v[44:45], v[44:45], v[60:61]
	ds_read_b128 v[92:95], v200 offset:16896
	ds_read_b128 v[88:91], v200 offset:19008
	v_add_f64 v[46:47], v[46:47], v[62:63]
	s_waitcnt lgkmcnt(5)
	v_add_f64 v[44:45], v[44:45], v[64:65]
	ds_read_b128 v[96:99], v200 offset:21120
	v_add_f64 v[46:47], v[46:47], v[66:67]
	s_waitcnt lgkmcnt(5)
	v_add_f64 v[44:45], v[44:45], v[52:53]
	v_add_f64 v[46:47], v[46:47], v[54:55]
	s_waitcnt lgkmcnt(4)
	v_add_f64 v[44:45], v[44:45], v[56:57]
	;; [unrolled: 3-line block ×5, first 2 shown]
	s_waitcnt lgkmcnt(0)
	v_add_f64 v[82:83], v[74:75], -v[98:99]
	v_add_f64 v[46:47], v[46:47], v[90:91]
	v_add_f64 v[44:45], v[44:45], v[96:97]
	;; [unrolled: 1-line block ×3, first 2 shown]
	v_add_f64 v[78:79], v[72:73], -v[96:97]
	v_add_f64 v[72:73], v[86:87], v[90:91]
	v_add_f64 v[86:87], v[86:87], -v[90:91]
	v_add_f64 v[90:91], v[60:61], v[92:93]
	;; [unrolled: 2-line block ×4, first 2 shown]
	v_add_f64 v[52:53], v[52:53], -v[56:57]
	v_mul_f64 v[56:57], v[82:83], s[26:27]
	v_mul_f64 v[96:97], v[82:83], s[20:21]
	;; [unrolled: 1-line block ×5, first 2 shown]
	v_add_f64 v[46:47], v[46:47], v[98:99]
	v_add_f64 v[76:77], v[74:75], v[98:99]
	;; [unrolled: 1-line block ×3, first 2 shown]
	v_add_f64 v[84:85], v[84:85], -v[88:89]
	v_add_f64 v[88:89], v[62:63], v[94:95]
	v_add_f64 v[62:63], v[62:63], -v[94:95]
	v_add_f64 v[94:95], v[64:65], v[68:69]
	;; [unrolled: 2-line block ×3, first 2 shown]
	v_add_f64 v[54:55], v[54:55], -v[58:59]
	v_fma_f64 v[58:59], v[80:81], s[14:15], -v[56:57]
	v_fmac_f64_e32 v[56:57], s[14:15], v[80:81]
	v_fma_f64 v[98:99], v[80:81], s[12:13], -v[96:97]
	v_fmac_f64_e32 v[96:97], s[12:13], v[80:81]
	;; [unrolled: 2-line block ×5, first 2 shown]
	v_mul_f64 v[80:81], v[78:79], s[26:27]
	v_mul_f64 v[112:113], v[78:79], s[20:21]
	;; [unrolled: 1-line block ×5, first 2 shown]
	v_fma_f64 v[110:111], s[14:15], v[76:77], v[80:81]
	v_fma_f64 v[80:81], v[76:77], s[14:15], -v[80:81]
	v_fma_f64 v[114:115], s[12:13], v[76:77], v[112:113]
	v_fma_f64 v[112:113], v[76:77], s[12:13], -v[112:113]
	;; [unrolled: 2-line block ×5, first 2 shown]
	v_add_f64 v[130:131], v[50:51], v[76:77]
	v_mul_f64 v[76:77], v[86:87], s[20:21]
	v_add_f64 v[58:59], v[48:49], v[58:59]
	v_add_f64 v[78:79], v[50:51], v[110:111]
	;; [unrolled: 1-line block ×14, first 2 shown]
	v_fma_f64 v[48:49], v[74:75], s[12:13], -v[76:77]
	v_add_f64 v[48:49], v[48:49], v[58:59]
	v_mul_f64 v[58:59], v[84:85], s[20:21]
	v_add_f64 v[80:81], v[50:51], v[80:81]
	v_add_f64 v[112:113], v[50:51], v[112:113]
	;; [unrolled: 1-line block ×5, first 2 shown]
	v_fma_f64 v[50:51], s[12:13], v[72:73], v[58:59]
	v_add_f64 v[50:51], v[50:51], v[78:79]
	v_mul_f64 v[78:79], v[62:63], s[18:19]
	v_fma_f64 v[82:83], v[90:91], s[2:3], -v[78:79]
	v_add_f64 v[48:49], v[82:83], v[48:49]
	v_mul_f64 v[82:83], v[60:61], s[18:19]
	v_fma_f64 v[104:105], s[2:3], v[88:89], v[82:83]
	v_add_f64 v[50:51], v[104:105], v[50:51]
	v_mul_f64 v[104:105], v[66:67], s[22:23]
	v_fma_f64 v[108:109], v[94:95], s[16:17], -v[104:105]
	v_add_f64 v[48:49], v[108:109], v[48:49]
	v_mul_f64 v[108:109], v[64:65], s[22:23]
	v_fma_f64 v[132:133], s[16:17], v[92:93], v[108:109]
	v_fmac_f64_e32 v[76:77], s[12:13], v[74:75]
	v_add_f64 v[50:51], v[132:133], v[50:51]
	v_mul_f64 v[132:133], v[54:55], s[28:29]
	v_add_f64 v[56:57], v[76:77], v[56:57]
	v_fma_f64 v[58:59], v[72:73], s[12:13], -v[58:59]
	v_fmac_f64_e32 v[78:79], s[2:3], v[90:91]
	v_fma_f64 v[134:135], v[70:71], s[24:25], -v[132:133]
	v_add_f64 v[58:59], v[58:59], v[80:81]
	v_add_f64 v[56:57], v[78:79], v[56:57]
	v_fma_f64 v[76:77], v[88:89], s[2:3], -v[82:83]
	v_fmac_f64_e32 v[104:105], s[16:17], v[94:95]
	v_add_f64 v[48:49], v[134:135], v[48:49]
	v_mul_f64 v[134:135], v[52:53], s[28:29]
	v_add_f64 v[58:59], v[76:77], v[58:59]
	v_add_f64 v[56:57], v[104:105], v[56:57]
	v_fma_f64 v[76:77], v[92:93], s[16:17], -v[108:109]
	v_fmac_f64_e32 v[132:133], s[24:25], v[70:71]
	v_add_f64 v[58:59], v[76:77], v[58:59]
	v_add_f64 v[80:81], v[132:133], v[56:57]
	v_fma_f64 v[56:57], v[68:69], s[24:25], -v[134:135]
	v_mul_f64 v[76:77], v[86:87], s[22:23]
	v_add_f64 v[82:83], v[56:57], v[58:59]
	v_fma_f64 v[56:57], v[74:75], s[16:17], -v[76:77]
	v_add_f64 v[56:57], v[56:57], v[98:99]
	v_mul_f64 v[98:99], v[62:63], s[34:35]
	v_mul_f64 v[78:79], v[84:85], s[22:23]
	v_fma_f64 v[104:105], v[90:91], s[24:25], -v[98:99]
	v_fma_f64 v[58:59], s[16:17], v[72:73], v[78:79]
	v_add_f64 v[56:57], v[104:105], v[56:57]
	v_mul_f64 v[104:105], v[60:61], s[34:35]
	v_add_f64 v[58:59], v[58:59], v[110:111]
	v_fma_f64 v[108:109], s[24:25], v[88:89], v[104:105]
	v_add_f64 v[58:59], v[108:109], v[58:59]
	v_mul_f64 v[108:109], v[66:67], s[36:37]
	v_fma_f64 v[110:111], v[94:95], s[2:3], -v[108:109]
	v_add_f64 v[56:57], v[110:111], v[56:57]
	v_mul_f64 v[110:111], v[64:65], s[36:37]
	v_fma_f64 v[132:133], s[2:3], v[92:93], v[110:111]
	v_add_f64 v[58:59], v[132:133], v[58:59]
	v_mul_f64 v[132:133], v[54:55], s[30:31]
	v_fmac_f64_e32 v[76:77], s[16:17], v[74:75]
	v_fma_f64 v[78:79], v[72:73], s[16:17], -v[78:79]
	v_fma_f64 v[136:137], s[24:25], v[68:69], v[134:135]
	v_fma_f64 v[134:135], v[70:71], s[14:15], -v[132:133]
	v_add_f64 v[76:77], v[76:77], v[96:97]
	v_add_f64 v[78:79], v[78:79], v[112:113]
	v_fma_f64 v[96:97], v[88:89], s[24:25], -v[104:105]
	v_add_f64 v[56:57], v[134:135], v[56:57]
	v_mul_f64 v[134:135], v[52:53], s[30:31]
	v_fmac_f64_e32 v[98:99], s[24:25], v[90:91]
	v_add_f64 v[78:79], v[96:97], v[78:79]
	v_fma_f64 v[96:97], v[92:93], s[2:3], -v[110:111]
	v_add_f64 v[76:77], v[98:99], v[76:77]
	v_fmac_f64_e32 v[108:109], s[2:3], v[94:95]
	v_add_f64 v[78:79], v[96:97], v[78:79]
	v_fma_f64 v[96:97], v[68:69], s[14:15], -v[134:135]
	v_mul_f64 v[104:105], v[86:87], s[34:35]
	s_mov_b32 s21, 0x3fed1bb4
	v_add_f64 v[76:77], v[108:109], v[76:77]
	v_add_f64 v[78:79], v[96:97], v[78:79]
	v_fma_f64 v[96:97], v[74:75], s[24:25], -v[104:105]
	v_mul_f64 v[108:109], v[62:63], s[20:21]
	v_add_f64 v[96:97], v[96:97], v[102:103]
	v_mul_f64 v[102:103], v[84:85], s[34:35]
	v_fma_f64 v[110:111], v[90:91], s[12:13], -v[108:109]
	v_fma_f64 v[98:99], s[24:25], v[72:73], v[102:103]
	v_add_f64 v[96:97], v[110:111], v[96:97]
	v_mul_f64 v[110:111], v[60:61], s[20:21]
	v_add_f64 v[98:99], v[98:99], v[114:115]
	v_fma_f64 v[112:113], s[12:13], v[88:89], v[110:111]
	v_add_f64 v[98:99], v[112:113], v[98:99]
	v_mul_f64 v[112:113], v[66:67], s[26:27]
	v_fma_f64 v[114:115], v[94:95], s[14:15], -v[112:113]
	v_fmac_f64_e32 v[132:133], s[14:15], v[70:71]
	v_add_f64 v[96:97], v[114:115], v[96:97]
	v_mul_f64 v[114:115], v[64:65], s[26:27]
	v_add_f64 v[76:77], v[132:133], v[76:77]
	v_fma_f64 v[132:133], s[14:15], v[92:93], v[114:115]
	v_add_f64 v[98:99], v[132:133], v[98:99]
	v_mul_f64 v[132:133], v[54:55], s[22:23]
	v_fmac_f64_e32 v[104:105], s[24:25], v[74:75]
	v_fma_f64 v[102:103], v[72:73], s[24:25], -v[102:103]
	v_add_f64 v[50:51], v[136:137], v[50:51]
	v_fma_f64 v[136:137], s[14:15], v[68:69], v[134:135]
	v_fma_f64 v[134:135], v[70:71], s[16:17], -v[132:133]
	v_add_f64 v[100:101], v[104:105], v[100:101]
	v_add_f64 v[102:103], v[102:103], v[116:117]
	v_fma_f64 v[104:105], v[88:89], s[12:13], -v[110:111]
	v_add_f64 v[96:97], v[134:135], v[96:97]
	v_mul_f64 v[134:135], v[52:53], s[22:23]
	v_fmac_f64_e32 v[108:109], s[12:13], v[90:91]
	v_add_f64 v[102:103], v[104:105], v[102:103]
	v_fma_f64 v[104:105], v[92:93], s[14:15], -v[114:115]
	v_add_f64 v[100:101], v[108:109], v[100:101]
	v_fmac_f64_e32 v[112:113], s[14:15], v[94:95]
	v_add_f64 v[102:103], v[104:105], v[102:103]
	v_fma_f64 v[104:105], v[68:69], s[16:17], -v[134:135]
	v_mul_f64 v[108:109], v[86:87], s[36:37]
	v_add_f64 v[100:101], v[112:113], v[100:101]
	v_add_f64 v[102:103], v[104:105], v[102:103]
	v_fma_f64 v[104:105], v[74:75], s[2:3], -v[108:109]
	v_mul_f64 v[112:113], v[62:63], s[26:27]
	v_add_f64 v[104:105], v[104:105], v[106:107]
	v_mul_f64 v[110:111], v[84:85], s[36:37]
	v_fma_f64 v[114:115], v[90:91], s[14:15], -v[112:113]
	v_fma_f64 v[106:107], s[2:3], v[72:73], v[110:111]
	v_add_f64 v[104:105], v[114:115], v[104:105]
	v_mul_f64 v[114:115], v[60:61], s[26:27]
	v_add_f64 v[106:107], v[106:107], v[118:119]
	v_fma_f64 v[116:117], s[14:15], v[88:89], v[114:115]
	v_add_f64 v[106:107], v[116:117], v[106:107]
	v_mul_f64 v[116:117], v[66:67], s[28:29]
	v_fma_f64 v[118:119], v[94:95], s[24:25], -v[116:117]
	v_fmac_f64_e32 v[132:133], s[16:17], v[70:71]
	v_add_f64 v[104:105], v[118:119], v[104:105]
	v_mul_f64 v[118:119], v[64:65], s[28:29]
	v_add_f64 v[100:101], v[132:133], v[100:101]
	v_fma_f64 v[132:133], s[24:25], v[92:93], v[118:119]
	v_fmac_f64_e32 v[108:109], s[2:3], v[74:75]
	v_add_f64 v[106:107], v[132:133], v[106:107]
	v_mul_f64 v[132:133], v[54:55], s[20:21]
	v_add_f64 v[108:109], v[108:109], v[122:123]
	v_fma_f64 v[110:111], v[72:73], s[2:3], -v[110:111]
	v_fmac_f64_e32 v[112:113], s[14:15], v[90:91]
	v_add_f64 v[58:59], v[136:137], v[58:59]
	v_fma_f64 v[136:137], s[16:17], v[68:69], v[134:135]
	v_fma_f64 v[134:135], v[70:71], s[12:13], -v[132:133]
	v_add_f64 v[110:111], v[110:111], v[120:121]
	v_add_f64 v[108:109], v[112:113], v[108:109]
	v_fma_f64 v[112:113], v[88:89], s[14:15], -v[114:115]
	v_add_f64 v[104:105], v[134:135], v[104:105]
	v_mul_f64 v[134:135], v[52:53], s[20:21]
	v_add_f64 v[110:111], v[112:113], v[110:111]
	v_fma_f64 v[112:113], v[92:93], s[24:25], -v[118:119]
	v_fmac_f64_e32 v[116:117], s[24:25], v[94:95]
	v_add_f64 v[110:111], v[112:113], v[110:111]
	v_fma_f64 v[112:113], v[68:69], s[12:13], -v[134:135]
	v_mul_f64 v[86:87], v[86:87], s[30:31]
	v_add_f64 v[108:109], v[116:117], v[108:109]
	v_add_f64 v[110:111], v[112:113], v[110:111]
	v_fma_f64 v[112:113], v[74:75], s[14:15], -v[86:87]
	v_mul_f64 v[116:117], v[62:63], s[22:23]
	v_add_f64 v[112:113], v[112:113], v[126:127]
	v_mul_f64 v[84:85], v[84:85], s[30:31]
	v_fma_f64 v[62:63], v[90:91], s[16:17], -v[116:117]
	v_fma_f64 v[114:115], s[14:15], v[72:73], v[84:85]
	v_add_f64 v[62:63], v[62:63], v[112:113]
	v_mul_f64 v[112:113], v[60:61], s[22:23]
	v_add_f64 v[114:115], v[114:115], v[124:125]
	v_fma_f64 v[60:61], s[16:17], v[88:89], v[112:113]
	v_mul_f64 v[66:67], v[66:67], s[20:21]
	v_add_f64 v[60:61], v[60:61], v[114:115]
	v_fma_f64 v[114:115], v[94:95], s[12:13], -v[66:67]
	v_mul_f64 v[64:65], v[64:65], s[20:21]
	v_fmac_f64_e32 v[86:87], s[14:15], v[74:75]
	v_fma_f64 v[72:73], v[72:73], s[14:15], -v[84:85]
	v_add_f64 v[62:63], v[114:115], v[62:63]
	v_fma_f64 v[114:115], s[12:13], v[92:93], v[64:65]
	v_mul_f64 v[54:55], v[54:55], s[18:19]
	v_add_f64 v[74:75], v[86:87], v[128:129]
	v_add_f64 v[72:73], v[72:73], v[130:131]
	v_fmac_f64_e32 v[116:117], s[16:17], v[90:91]
	v_fma_f64 v[84:85], v[88:89], s[16:17], -v[112:113]
	v_add_f64 v[114:115], v[114:115], v[60:61]
	v_fma_f64 v[60:61], v[70:71], s[2:3], -v[54:55]
	v_mul_f64 v[52:53], v[52:53], s[18:19]
	v_add_f64 v[74:75], v[116:117], v[74:75]
	v_add_f64 v[72:73], v[84:85], v[72:73]
	v_fmac_f64_e32 v[66:67], s[12:13], v[94:95]
	v_fma_f64 v[64:65], v[92:93], s[12:13], -v[64:65]
	v_add_f64 v[98:99], v[136:137], v[98:99]
	v_fma_f64 v[136:137], s[12:13], v[68:69], v[134:135]
	v_add_f64 v[60:61], v[60:61], v[62:63]
	v_fma_f64 v[62:63], s[2:3], v[68:69], v[52:53]
	v_add_f64 v[66:67], v[66:67], v[74:75]
	v_add_f64 v[64:65], v[64:65], v[72:73]
	v_fmac_f64_e32 v[54:55], s[2:3], v[70:71]
	v_fma_f64 v[68:69], v[68:69], s[2:3], -v[52:53]
	v_fmac_f64_e32 v[132:133], s[12:13], v[70:71]
	v_add_f64 v[52:53], v[54:55], v[66:67]
	v_add_f64 v[54:55], v[68:69], v[64:65]
	v_mul_lo_u16_e32 v64, 11, v202
	v_add_f64 v[106:107], v[136:137], v[106:107]
	v_add_f64 v[108:109], v[132:133], v[108:109]
	v_add_f64 v[62:63], v[62:63], v[114:115]
	v_lshlrev_b32_e32 v206, 4, v64
	s_barrier
	ds_write_b128 v206, v[44:47]
	ds_write_b128 v206, v[48:51] offset:16
	ds_write_b128 v206, v[56:59] offset:32
	;; [unrolled: 1-line block ×10, first 2 shown]
	s_waitcnt lgkmcnt(0)
	s_barrier
	ds_read_b128 v[92:95], v200
	ds_read_b128 v[88:91], v200 offset:2112
	ds_read_b128 v[96:99], v200 offset:15488
	;; [unrolled: 1-line block ×8, first 2 shown]
	s_load_dwordx2 s[12:13], s[0:1], 0x38
	s_movk_i32 s0, 0x58
	v_cmp_gt_u16_e32 vcc, s0, v202
                                        ; implicit-def: $vgpr120_vgpr121
	s_and_saveexec_b64 s[0:1], vcc
	s_cbranch_execz .LBB0_3
; %bb.2:
	ds_read_b128 v[76:79], v200 offset:6336
	ds_read_b128 v[80:83], v200 offset:14080
	;; [unrolled: 1-line block ×3, first 2 shown]
.LBB0_3:
	s_or_b64 exec, exec, s[0:1]
	s_mov_b64 s[0:1], 0x84
	v_lshl_add_u64 v[44:45], v[202:203], 0, s[0:1]
	s_mov_b64 s[0:1], 0x108
	v_lshl_add_u64 v[124:125], v[202:203], 0, s[0:1]
	s_mov_b32 s0, 0xba2f
	v_mul_u32_u24_sdwa v45, v44, s0 dst_sel:DWORD dst_unused:UNUSED_PAD src0_sel:WORD_0 src1_sel:DWORD
	v_lshrrev_b32_e32 v125, 19, v45
	v_mul_lo_u16_e32 v45, 11, v125
	v_sub_u16_e32 v150, v44, v45
	v_lshlrev_b16_e32 v44, 1, v150
	v_lshlrev_b32_e32 v56, 4, v44
	v_add_u16_e32 v44, 0x18c, v202
	v_mul_u32_u24_e32 v45, 0xba2f, v44
	v_lshrrev_b32_e32 v203, 19, v45
	v_mul_lo_u16_e32 v45, 11, v203
	v_sub_u16_e32 v205, v44, v45
	v_lshlrev_b16_e32 v44, 1, v205
	v_lshlrev_b32_e32 v57, 4, v44
	global_load_dwordx4 v[44:47], v57, s[10:11] offset:16
	global_load_dwordx4 v[48:51], v57, s[10:11]
	global_load_dwordx4 v[52:55], v56, s[10:11] offset:16
	global_load_dwordx4 v[64:67], v56, s[10:11]
	v_mul_u32_u24_sdwa v56, v124, s0 dst_sel:DWORD dst_unused:UNUSED_PAD src0_sel:WORD_0 src1_sel:DWORD
	v_lshrrev_b32_e32 v151, 19, v56
	v_mul_lo_u16_e32 v56, 11, v151
	v_sub_u16_e32 v156, v124, v56
	v_lshlrev_b16_e32 v56, 1, v156
	v_lshlrev_b32_e32 v68, 4, v56
	s_movk_i32 s0, 0x75
	global_load_dwordx4 v[60:63], v68, s[10:11]
	global_load_dwordx4 v[56:59], v68, s[10:11] offset:16
	v_mul_lo_u16_sdwa v68, v202, s0 dst_sel:DWORD dst_unused:UNUSED_PAD src0_sel:BYTE_0 src1_sel:DWORD
	v_sub_u16_sdwa v69, v202, v68 dst_sel:DWORD dst_unused:UNUSED_PAD src0_sel:DWORD src1_sel:BYTE_1
	v_lshrrev_b16_e32 v69, 1, v69
	v_and_b32_e32 v69, 0x7f, v69
	v_add_u16_sdwa v68, v69, v68 dst_sel:DWORD dst_unused:UNUSED_PAD src0_sel:DWORD src1_sel:BYTE_1
	v_lshrrev_b16_e32 v157, 3, v68
	v_mul_lo_u16_e32 v68, 11, v157
	v_sub_u16_e32 v68, v202, v68
	v_and_b32_e32 v158, 0xff, v68
	v_lshlrev_b32_e32 v68, 5, v158
	global_load_dwordx4 v[72:75], v68, s[10:11]
	s_nop 0
	global_load_dwordx4 v[68:71], v68, s[10:11] offset:16
	s_mov_b32 s0, 0xe8584caa
	s_mov_b32 s1, 0x3febb67a
	;; [unrolled: 1-line block ×4, first 2 shown]
	s_waitcnt lgkmcnt(0)
	s_barrier
	s_waitcnt vmcnt(7)
	v_mul_f64 v[132:133], v[122:123], v[46:47]
	s_waitcnt vmcnt(6)
	v_mul_f64 v[126:127], v[80:81], v[50:51]
	;; [unrolled: 2-line block ×4, first 2 shown]
	v_mul_f64 v[134:135], v[118:119], v[66:67]
	v_mul_f64 v[140:141], v[104:105], v[54:55]
	v_fmac_f64_e32 v[136:137], v[118:119], v[64:65]
	v_fma_f64 v[118:119], v[104:105], v[52:53], -v[138:139]
	v_mul_f64 v[130:131], v[82:83], v[50:51]
	v_mul_f64 v[128:129], v[120:121], v[46:47]
	v_fmac_f64_e32 v[126:127], v[82:83], v[48:49]
	s_waitcnt vmcnt(2)
	v_mul_f64 v[146:147], v[110:111], v[58:59]
	v_mul_f64 v[148:149], v[108:109], v[58:59]
	v_fma_f64 v[82:83], v[120:121], v[44:45], -v[132:133]
	v_fma_f64 v[120:121], v[116:117], v[64:65], -v[134:135]
	v_fmac_f64_e32 v[140:141], v[106:107], v[52:53]
	v_fma_f64 v[134:135], v[108:109], v[56:57], -v[146:147]
	v_fmac_f64_e32 v[148:149], v[110:111], v[56:57]
	v_mul_f64 v[142:143], v[114:115], v[62:63]
	v_mul_f64 v[144:145], v[112:113], v[62:63]
	v_fma_f64 v[132:133], v[112:113], v[60:61], -v[142:143]
	s_waitcnt vmcnt(1)
	v_mul_f64 v[104:105], v[102:103], v[74:75]
	v_mul_f64 v[106:107], v[100:101], v[74:75]
	s_waitcnt vmcnt(0)
	v_mul_f64 v[108:109], v[98:99], v[70:71]
	v_mul_f64 v[110:111], v[96:97], v[70:71]
	v_fma_f64 v[100:101], v[100:101], v[72:73], -v[104:105]
	v_fma_f64 v[96:97], v[96:97], v[68:69], -v[108:109]
	v_fmac_f64_e32 v[110:111], v[98:99], v[68:69]
	v_add_f64 v[98:99], v[92:93], v[100:101]
	v_fmac_f64_e32 v[106:107], v[102:103], v[72:73]
	v_add_f64 v[102:103], v[100:101], v[96:97]
	v_add_f64 v[100:101], v[100:101], -v[96:97]
	v_add_f64 v[104:105], v[98:99], v[96:97]
	v_add_f64 v[96:97], v[120:121], v[118:119]
	;; [unrolled: 1-line block ×4, first 2 shown]
	v_fmac_f64_e32 v[88:89], -0.5, v[96:97]
	v_add_f64 v[96:97], v[136:137], -v[140:141]
	v_fmac_f64_e32 v[144:145], v[114:115], v[60:61]
	v_add_f64 v[114:115], v[106:107], -v[110:111]
	v_add_f64 v[108:109], v[94:95], v[106:107]
	v_fmac_f64_e32 v[92:93], -0.5, v[102:103]
	v_fmac_f64_e32 v[94:95], -0.5, v[116:117]
	v_fma_f64 v[116:117], s[0:1], v[96:97], v[88:89]
	v_fmac_f64_e32 v[88:89], s[2:3], v[96:97]
	v_add_f64 v[96:97], v[90:91], v[136:137]
	v_add_f64 v[106:107], v[108:109], v[110:111]
	v_fma_f64 v[108:109], s[0:1], v[114:115], v[92:93]
	v_fmac_f64_e32 v[92:93], s[2:3], v[114:115]
	v_add_f64 v[114:115], v[96:97], v[140:141]
	v_add_f64 v[96:97], v[136:137], v[140:141]
	v_fmac_f64_e32 v[90:91], -0.5, v[96:97]
	v_add_f64 v[96:97], v[120:121], -v[118:119]
	v_add_f64 v[112:113], v[112:113], v[118:119]
	v_fma_f64 v[118:119], s[2:3], v[96:97], v[90:91]
	v_fmac_f64_e32 v[90:91], s[0:1], v[96:97]
	v_add_f64 v[96:97], v[84:85], v[132:133]
	v_add_f64 v[120:121], v[96:97], v[134:135]
	v_add_f64 v[96:97], v[132:133], v[134:135]
	v_fmac_f64_e32 v[84:85], -0.5, v[96:97]
	v_add_f64 v[96:97], v[144:145], -v[148:149]
	v_fma_f64 v[80:81], v[80:81], v[48:49], -v[130:131]
	v_fma_f64 v[130:131], s[0:1], v[96:97], v[84:85]
	v_fmac_f64_e32 v[84:85], s[2:3], v[96:97]
	v_add_f64 v[96:97], v[86:87], v[144:145]
	v_fmac_f64_e32 v[128:129], v[122:123], v[44:45]
	v_add_f64 v[122:123], v[96:97], v[148:149]
	v_add_f64 v[96:97], v[144:145], v[148:149]
	v_fmac_f64_e32 v[86:87], -0.5, v[96:97]
	v_add_f64 v[96:97], v[132:133], -v[134:135]
	v_mul_u32_u24_e32 v134, 33, v157
	v_add_lshl_u32 v207, v134, v158, 4
	v_fma_f64 v[110:111], s[2:3], v[100:101], v[94:95]
	v_fmac_f64_e32 v[94:95], s[0:1], v[100:101]
	ds_write_b128 v207, v[104:107]
	ds_write_b128 v207, v[108:111] offset:176
	ds_write_b128 v207, v[92:95] offset:352
	v_mad_legacy_u16 v92, v125, 33, v150
	v_fma_f64 v[132:133], s[2:3], v[96:97], v[86:87]
	v_fmac_f64_e32 v[86:87], s[0:1], v[96:97]
	v_add_f64 v[96:97], v[80:81], v[82:83]
	v_add_f64 v[100:101], v[126:127], v[128:129]
	v_lshlrev_b32_e32 v208, 4, v92
	v_fma_f64 v[96:97], -0.5, v[96:97], v[76:77]
	v_add_f64 v[98:99], v[126:127], -v[128:129]
	v_fma_f64 v[100:101], -0.5, v[100:101], v[78:79]
	v_add_f64 v[102:103], v[80:81], -v[82:83]
	ds_write_b128 v208, v[112:115]
	ds_write_b128 v208, v[116:119] offset:176
	ds_write_b128 v208, v[88:91] offset:352
	v_mad_legacy_u16 v88, v151, 33, v156
	v_fma_f64 v[152:153], s[2:3], v[98:99], v[96:97]
	v_fma_f64 v[154:155], s[0:1], v[102:103], v[100:101]
	v_lshlrev_b32_e32 v209, 4, v88
	ds_write_b128 v209, v[120:123]
	ds_write_b128 v209, v[130:133] offset:176
	ds_write_b128 v209, v[84:87] offset:352
	s_and_saveexec_b64 s[2:3], vcc
	s_cbranch_execz .LBB0_5
; %bb.4:
	v_add_f64 v[78:79], v[78:79], v[126:127]
	v_add_f64 v[76:77], v[76:77], v[80:81]
	v_mad_legacy_u16 v80, v203, 33, v205
	v_mul_f64 v[84:85], v[98:99], s[0:1]
	v_mul_f64 v[86:87], v[102:103], s[0:1]
	v_add_f64 v[78:79], v[78:79], v[128:129]
	v_add_f64 v[76:77], v[76:77], v[82:83]
	v_lshlrev_b32_e32 v80, 4, v80
	v_add_f64 v[86:87], v[100:101], -v[86:87]
	v_add_f64 v[84:85], v[84:85], v[96:97]
	ds_write_b128 v80, v[76:79]
	ds_write_b128 v80, v[84:87] offset:176
	ds_write_b128 v80, v[152:155] offset:352
.LBB0_5:
	s_or_b64 exec, exec, s[2:3]
	s_movk_i32 s0, 0xf9
	v_mul_lo_u16_sdwa v76, v202, s0 dst_sel:DWORD dst_unused:UNUSED_PAD src0_sel:BYTE_0 src1_sel:DWORD
	v_lshrrev_b16_e32 v125, 13, v76
	v_mul_lo_u16_e32 v76, 33, v125
	v_sub_u16_e32 v76, v202, v76
	v_and_b32_e32 v142, 0xff, v76
	s_movk_i32 s0, 0xa0
	v_mov_b64_e32 v[76:77], s[10:11]
	v_mad_u64_u32 v[108:109], s[0:1], v142, s0, v[76:77]
	s_waitcnt lgkmcnt(0)
	s_barrier
	global_load_dwordx4 v[88:91], v[108:109], off offset:352
	global_load_dwordx4 v[84:87], v[108:109], off offset:368
	;; [unrolled: 1-line block ×9, first 2 shown]
	s_nop 0
	global_load_dwordx4 v[108:111], v[108:109], off offset:496
	ds_read_b128 v[144:147], v200
	ds_read_b128 v[116:119], v200 offset:2112
	ds_read_b128 v[126:129], v200 offset:4224
	;; [unrolled: 1-line block ×10, first 2 shown]
	s_mov_b32 s24, 0xf8bb580b
	s_mov_b32 s16, 0x43842ef
	;; [unrolled: 1-line block ×21, first 2 shown]
	v_mul_u32_u24_e32 v125, 0x16b, v125
	s_waitcnt lgkmcnt(0)
	s_barrier
	s_waitcnt vmcnt(9)
	v_mul_f64 v[180:181], v[118:119], v[90:91]
	v_mul_f64 v[182:183], v[116:117], v[90:91]
	s_waitcnt vmcnt(8)
	v_mul_f64 v[184:185], v[128:129], v[86:87]
	v_mul_f64 v[186:187], v[126:127], v[86:87]
	;; [unrolled: 3-line block ×3, first 2 shown]
	v_fma_f64 v[116:117], v[116:117], v[88:89], -v[180:181]
	v_fmac_f64_e32 v[182:183], v[118:119], v[88:89]
	v_mul_f64 v[188:189], v[136:137], v[82:83]
	s_waitcnt vmcnt(0)
	v_mul_f64 v[214:215], v[178:179], v[110:111]
	v_mul_f64 v[138:139], v[134:135], v[82:83]
	;; [unrolled: 1-line block ×4, first 2 shown]
	v_fma_f64 v[180:181], v[126:127], v[84:85], -v[184:185]
	v_fmac_f64_e32 v[186:187], v[128:129], v[84:85]
	v_fma_f64 v[126:127], v[156:157], v[104:105], -v[192:193]
	v_fmac_f64_e32 v[120:121], v[158:159], v[104:105]
	v_fma_f64 v[118:119], v[176:177], v[108:109], -v[214:215]
	v_add_f64 v[156:157], v[144:145], v[116:117]
	v_add_f64 v[158:159], v[146:147], v[182:183]
	v_mul_f64 v[190:191], v[150:151], v[78:79]
	v_mul_f64 v[130:131], v[148:149], v[78:79]
	;; [unrolled: 1-line block ×4, first 2 shown]
	v_fma_f64 v[184:185], v[134:135], v[80:81], -v[188:189]
	v_fmac_f64_e32 v[138:139], v[136:137], v[80:81]
	v_fma_f64 v[128:129], v[160:161], v[100:101], -v[194:195]
	v_fma_f64 v[136:137], v[164:165], v[96:97], -v[196:197]
	v_add_f64 v[160:161], v[116:117], v[118:119]
	v_add_f64 v[164:165], v[116:117], -v[118:119]
	v_add_f64 v[116:117], v[156:157], v[180:181]
	v_add_f64 v[156:157], v[158:159], v[186:187]
	v_fma_f64 v[134:135], v[148:149], v[76:77], -v[190:191]
	v_fmac_f64_e32 v[130:131], v[150:151], v[76:77]
	v_add_f64 v[116:117], v[116:117], v[184:185]
	v_add_f64 v[156:157], v[156:157], v[138:139]
	;; [unrolled: 1-line block ×4, first 2 shown]
	v_fmac_f64_e32 v[122:123], v[162:163], v[100:101]
	v_add_f64 v[116:117], v[116:117], v[126:127]
	v_add_f64 v[156:157], v[156:157], v[120:121]
	v_mul_f64 v[198:199], v[170:171], v[94:95]
	v_mul_f64 v[140:141], v[168:169], v[94:95]
	v_fmac_f64_e32 v[132:133], v[166:167], v[96:97]
	v_add_f64 v[116:117], v[116:117], v[128:129]
	v_add_f64 v[156:157], v[156:157], v[122:123]
	v_mul_f64 v[210:211], v[174:175], v[114:115]
	v_mul_f64 v[212:213], v[172:173], v[114:115]
	;; [unrolled: 1-line block ×3, first 2 shown]
	v_fma_f64 v[148:149], v[168:169], v[92:93], -v[198:199]
	v_fmac_f64_e32 v[140:141], v[170:171], v[92:93]
	v_add_f64 v[116:117], v[116:117], v[136:137]
	v_add_f64 v[156:157], v[156:157], v[132:133]
	v_fma_f64 v[150:151], v[172:173], v[112:113], -v[210:211]
	v_fmac_f64_e32 v[212:213], v[174:175], v[112:113]
	v_fmac_f64_e32 v[216:217], v[178:179], v[108:109]
	v_add_f64 v[116:117], v[116:117], v[148:149]
	v_add_f64 v[156:157], v[156:157], v[140:141]
	v_add_f64 v[166:167], v[182:183], -v[216:217]
	v_add_f64 v[116:117], v[116:117], v[150:151]
	v_add_f64 v[156:157], v[156:157], v[212:213]
	;; [unrolled: 1-line block ×5, first 2 shown]
	v_mul_f64 v[156:157], v[166:167], s[24:25]
	v_mul_f64 v[168:169], v[164:165], s[24:25]
	v_mul_f64 v[172:173], v[166:167], s[14:15]
	v_mul_f64 v[176:177], v[164:165], s[14:15]
	v_mul_f64 v[182:183], v[166:167], s[16:17]
	v_mul_f64 v[190:191], v[164:165], s[16:17]
	v_mul_f64 v[194:195], v[166:167], s[22:23]
	v_mul_f64 v[198:199], v[164:165], s[22:23]
	v_mul_f64 v[166:167], v[166:167], s[28:29]
	v_mul_f64 v[164:165], v[164:165], s[28:29]
	v_fma_f64 v[158:159], v[160:161], s[18:19], -v[156:157]
	v_fma_f64 v[170:171], s[18:19], v[162:163], v[168:169]
	v_fmac_f64_e32 v[156:157], s[18:19], v[160:161]
	v_fma_f64 v[168:169], v[162:163], s[18:19], -v[168:169]
	v_fma_f64 v[174:175], v[160:161], s[0:1], -v[172:173]
	v_fma_f64 v[178:179], s[0:1], v[162:163], v[176:177]
	v_fmac_f64_e32 v[172:173], s[0:1], v[160:161]
	v_fma_f64 v[176:177], v[162:163], s[0:1], -v[176:177]
	;; [unrolled: 4-line block ×5, first 2 shown]
	v_add_f64 v[164:165], v[186:187], -v[212:213]
	v_add_f64 v[158:159], v[144:145], v[158:159]
	v_add_f64 v[170:171], v[146:147], v[170:171]
	;; [unrolled: 1-line block ×21, first 2 shown]
	v_mul_f64 v[166:167], v[164:165], s[14:15]
	v_add_f64 v[150:151], v[180:181], -v[150:151]
	v_fma_f64 v[180:181], v[160:161], s[0:1], -v[166:167]
	v_add_f64 v[162:163], v[186:187], v[212:213]
	v_add_f64 v[158:159], v[180:181], v[158:159]
	v_mul_f64 v[180:181], v[150:151], s[14:15]
	v_fmac_f64_e32 v[166:167], s[0:1], v[160:161]
	v_add_f64 v[156:157], v[166:167], v[156:157]
	v_fma_f64 v[166:167], v[162:163], s[0:1], -v[180:181]
	v_add_f64 v[166:167], v[166:167], v[168:169]
	v_mul_f64 v[168:169], v[164:165], s[22:23]
	v_fma_f64 v[186:187], s[0:1], v[162:163], v[180:181]
	v_fma_f64 v[180:181], v[160:161], s[20:21], -v[168:169]
	v_add_f64 v[174:175], v[180:181], v[174:175]
	v_mul_f64 v[180:181], v[150:151], s[22:23]
	v_fmac_f64_e32 v[168:169], s[20:21], v[160:161]
	v_add_f64 v[168:169], v[168:169], v[172:173]
	v_fma_f64 v[172:173], v[162:163], s[20:21], -v[180:181]
	v_add_f64 v[170:171], v[186:187], v[170:171]
	v_fma_f64 v[186:187], s[20:21], v[162:163], v[180:181]
	v_add_f64 v[172:173], v[172:173], v[176:177]
	v_mul_f64 v[176:177], v[164:165], s[36:37]
	v_add_f64 v[178:179], v[186:187], v[178:179]
	v_fma_f64 v[180:181], v[160:161], s[26:27], -v[176:177]
	v_mul_f64 v[186:187], v[150:151], s[36:37]
	v_fmac_f64_e32 v[176:177], s[26:27], v[160:161]
	v_add_f64 v[180:181], v[180:181], v[188:189]
	v_fma_f64 v[188:189], s[26:27], v[162:163], v[186:187]
	v_add_f64 v[176:177], v[176:177], v[182:183]
	v_fma_f64 v[182:183], v[162:163], s[26:27], -v[186:187]
	v_mul_f64 v[186:187], v[164:165], s[34:35]
	v_add_f64 v[188:189], v[188:189], v[192:193]
	v_add_f64 v[182:183], v[182:183], v[190:191]
	v_fma_f64 v[190:191], v[160:161], s[2:3], -v[186:187]
	v_mul_f64 v[192:193], v[150:151], s[34:35]
	v_add_f64 v[190:191], v[190:191], v[196:197]
	v_fma_f64 v[196:197], s[2:3], v[162:163], v[192:193]
	v_fmac_f64_e32 v[186:187], s[2:3], v[160:161]
	v_fma_f64 v[192:193], v[162:163], s[2:3], -v[192:193]
	v_mul_f64 v[164:165], v[164:165], s[30:31]
	v_mul_f64 v[150:151], v[150:151], s[30:31]
	v_add_f64 v[186:187], v[186:187], v[194:195]
	v_add_f64 v[192:193], v[192:193], v[198:199]
	v_fma_f64 v[194:195], v[160:161], s[18:19], -v[164:165]
	v_fma_f64 v[198:199], s[18:19], v[162:163], v[150:151]
	v_fmac_f64_e32 v[164:165], s[18:19], v[160:161]
	v_fma_f64 v[150:151], v[162:163], s[18:19], -v[150:151]
	v_add_f64 v[160:161], v[138:139], v[140:141]
	v_add_f64 v[138:139], v[138:139], -v[140:141]
	v_add_f64 v[146:147], v[150:151], v[146:147]
	v_add_f64 v[150:151], v[184:185], v[148:149]
	v_mul_f64 v[140:141], v[138:139], s[16:17]
	v_add_f64 v[148:149], v[184:185], -v[148:149]
	v_fma_f64 v[162:163], v[150:151], s[2:3], -v[140:141]
	v_add_f64 v[158:159], v[162:163], v[158:159]
	v_mul_f64 v[162:163], v[148:149], s[16:17]
	v_fmac_f64_e32 v[140:141], s[2:3], v[150:151]
	v_add_f64 v[144:145], v[164:165], v[144:145]
	v_fma_f64 v[164:165], s[2:3], v[160:161], v[162:163]
	v_add_f64 v[140:141], v[140:141], v[156:157]
	v_fma_f64 v[156:157], v[160:161], s[2:3], -v[162:163]
	v_mul_f64 v[162:163], v[138:139], s[36:37]
	v_add_f64 v[164:165], v[164:165], v[170:171]
	v_add_f64 v[156:157], v[156:157], v[166:167]
	v_fma_f64 v[166:167], v[150:151], s[26:27], -v[162:163]
	v_mul_f64 v[170:171], v[148:149], s[36:37]
	v_fmac_f64_e32 v[162:163], s[26:27], v[150:151]
	s_mov_b32 s15, 0x3fed1bb4
	v_add_f64 v[166:167], v[166:167], v[174:175]
	v_fma_f64 v[174:175], s[26:27], v[160:161], v[170:171]
	v_add_f64 v[162:163], v[162:163], v[168:169]
	v_fma_f64 v[168:169], v[160:161], s[26:27], -v[170:171]
	v_mul_f64 v[170:171], v[138:139], s[14:15]
	v_add_f64 v[174:175], v[174:175], v[178:179]
	v_add_f64 v[168:169], v[168:169], v[172:173]
	v_fma_f64 v[172:173], v[150:151], s[0:1], -v[170:171]
	v_mul_f64 v[178:179], v[148:149], s[14:15]
	v_fmac_f64_e32 v[170:171], s[0:1], v[150:151]
	v_add_f64 v[172:173], v[172:173], v[180:181]
	v_fma_f64 v[180:181], s[0:1], v[160:161], v[178:179]
	v_add_f64 v[170:171], v[170:171], v[176:177]
	v_fma_f64 v[176:177], v[160:161], s[0:1], -v[178:179]
	v_mul_f64 v[178:179], v[138:139], s[24:25]
	v_add_f64 v[176:177], v[176:177], v[182:183]
	v_fma_f64 v[182:183], v[150:151], s[18:19], -v[178:179]
	v_fmac_f64_e32 v[178:179], s[18:19], v[150:151]
	v_mul_f64 v[138:139], v[138:139], s[22:23]
	v_mul_f64 v[184:185], v[148:149], s[24:25]
	v_add_f64 v[178:179], v[178:179], v[186:187]
	v_fma_f64 v[186:187], v[150:151], s[20:21], -v[138:139]
	v_mul_f64 v[148:149], v[148:149], s[22:23]
	v_fmac_f64_e32 v[138:139], s[20:21], v[150:151]
	v_add_f64 v[182:183], v[182:183], v[190:191]
	v_fma_f64 v[190:191], s[20:21], v[160:161], v[148:149]
	v_add_f64 v[138:139], v[138:139], v[144:145]
	v_fma_f64 v[144:145], v[160:161], s[20:21], -v[148:149]
	v_add_f64 v[148:149], v[130:131], v[132:133]
	v_add_f64 v[130:131], v[130:131], -v[132:133]
	v_add_f64 v[144:145], v[144:145], v[146:147]
	v_add_f64 v[146:147], v[134:135], v[136:137]
	v_add_f64 v[134:135], v[134:135], -v[136:137]
	v_mul_f64 v[132:133], v[130:131], s[22:23]
	v_fma_f64 v[136:137], v[146:147], s[20:21], -v[132:133]
	v_mul_f64 v[150:151], v[134:135], s[22:23]
	v_fmac_f64_e32 v[132:133], s[20:21], v[146:147]
	v_add_f64 v[180:181], v[180:181], v[188:189]
	v_fma_f64 v[188:189], s[18:19], v[160:161], v[184:185]
	v_fma_f64 v[184:185], v[160:161], s[18:19], -v[184:185]
	v_add_f64 v[136:137], v[136:137], v[158:159]
	v_fma_f64 v[158:159], s[20:21], v[148:149], v[150:151]
	v_add_f64 v[132:133], v[132:133], v[140:141]
	v_fma_f64 v[140:141], v[148:149], s[20:21], -v[150:151]
	v_mul_f64 v[150:151], v[130:131], s[34:35]
	v_mul_f64 v[160:161], v[134:135], s[34:35]
	v_add_f64 v[158:159], v[158:159], v[164:165]
	v_add_f64 v[140:141], v[140:141], v[156:157]
	v_fma_f64 v[156:157], v[146:147], s[2:3], -v[150:151]
	v_fma_f64 v[164:165], s[2:3], v[148:149], v[160:161]
	v_fma_f64 v[160:161], v[148:149], s[2:3], -v[160:161]
	v_add_f64 v[156:157], v[156:157], v[166:167]
	v_fmac_f64_e32 v[150:151], s[2:3], v[146:147]
	v_add_f64 v[166:167], v[160:161], v[168:169]
	v_mul_f64 v[160:161], v[130:131], s[24:25]
	v_add_f64 v[150:151], v[150:151], v[162:163]
	v_fma_f64 v[162:163], v[146:147], s[18:19], -v[160:161]
	v_add_f64 v[168:169], v[162:163], v[172:173]
	v_mul_f64 v[162:163], v[134:135], s[24:25]
	v_fmac_f64_e32 v[160:161], s[18:19], v[146:147]
	v_add_f64 v[170:171], v[160:161], v[170:171]
	v_fma_f64 v[160:161], v[148:149], s[18:19], -v[162:163]
	v_add_f64 v[164:165], v[164:165], v[174:175]
	v_add_f64 v[174:175], v[160:161], v[176:177]
	v_mul_f64 v[160:161], v[130:131], s[28:29]
	v_fma_f64 v[172:173], s[18:19], v[148:149], v[162:163]
	v_fma_f64 v[162:163], v[146:147], s[26:27], -v[160:161]
	v_add_f64 v[176:177], v[162:163], v[182:183]
	v_mul_f64 v[162:163], v[134:135], s[28:29]
	v_fmac_f64_e32 v[160:161], s[26:27], v[146:147]
	v_add_f64 v[196:197], v[196:197], v[210:211]
	v_add_f64 v[194:195], v[194:195], v[214:215]
	;; [unrolled: 1-line block ×4, first 2 shown]
	v_fma_f64 v[160:161], v[148:149], s[26:27], -v[162:163]
	v_mul_f64 v[130:131], v[130:131], s[14:15]
	v_add_f64 v[198:199], v[198:199], v[216:217]
	v_add_f64 v[188:189], v[188:189], v[196:197]
	;; [unrolled: 1-line block ×4, first 2 shown]
	v_fma_f64 v[180:181], s[26:27], v[148:149], v[162:163]
	v_add_f64 v[182:183], v[160:161], v[184:185]
	v_fma_f64 v[160:161], v[146:147], s[0:1], -v[130:131]
	v_mul_f64 v[134:135], v[134:135], s[14:15]
	v_fmac_f64_e32 v[130:131], s[0:1], v[146:147]
	v_add_f64 v[190:191], v[190:191], v[198:199]
	v_add_f64 v[180:181], v[180:181], v[188:189]
	;; [unrolled: 1-line block ×3, first 2 shown]
	v_fma_f64 v[160:161], s[0:1], v[148:149], v[134:135]
	v_add_f64 v[188:189], v[130:131], v[138:139]
	v_fma_f64 v[130:131], v[148:149], s[0:1], -v[134:135]
	v_add_f64 v[186:187], v[160:161], v[190:191]
	v_add_f64 v[190:191], v[130:131], v[144:145]
	v_add_f64 v[144:145], v[120:121], -v[122:123]
	v_add_f64 v[148:149], v[126:127], v[128:129]
	v_add_f64 v[146:147], v[126:127], -v[128:129]
	v_mul_f64 v[126:127], v[144:145], s[28:29]
	v_add_f64 v[192:193], v[120:121], v[122:123]
	v_fma_f64 v[120:121], v[148:149], s[26:27], -v[126:127]
	v_mul_f64 v[128:129], v[146:147], s[28:29]
	v_fmac_f64_e32 v[126:127], s[26:27], v[148:149]
	v_add_f64 v[160:161], v[126:127], v[132:133]
	v_fma_f64 v[126:127], v[192:193], s[26:27], -v[128:129]
	v_mul_f64 v[130:131], v[144:145], s[30:31]
	v_mul_f64 v[132:133], v[146:147], s[30:31]
	v_fma_f64 v[122:123], s[26:27], v[192:193], v[128:129]
	v_add_f64 v[162:163], v[126:127], v[140:141]
	v_fma_f64 v[126:127], v[148:149], s[18:19], -v[130:131]
	v_fma_f64 v[128:129], s[18:19], v[192:193], v[132:133]
	v_fmac_f64_e32 v[130:131], s[18:19], v[148:149]
	v_add_f64 v[128:129], v[128:129], v[164:165]
	v_add_f64 v[164:165], v[130:131], v[150:151]
	v_fma_f64 v[130:131], v[192:193], s[18:19], -v[132:133]
	v_mul_f64 v[134:135], v[144:145], s[22:23]
	v_add_f64 v[120:121], v[120:121], v[136:137]
	v_add_f64 v[166:167], v[130:131], v[166:167]
	v_fma_f64 v[130:131], v[148:149], s[20:21], -v[134:135]
	v_mul_f64 v[136:137], v[146:147], s[22:23]
	v_fmac_f64_e32 v[134:135], s[20:21], v[148:149]
	v_mul_f64 v[150:151], v[144:145], s[16:17]
	v_add_f64 v[126:127], v[126:127], v[156:157]
	v_add_f64 v[130:131], v[130:131], v[168:169]
	;; [unrolled: 1-line block ×3, first 2 shown]
	v_fma_f64 v[134:135], v[192:193], s[20:21], -v[136:137]
	v_mul_f64 v[138:139], v[144:145], s[14:15]
	v_mul_f64 v[140:141], v[146:147], s[14:15]
	v_fma_f64 v[144:145], v[148:149], s[2:3], -v[150:151]
	v_mul_f64 v[168:169], v[146:147], s[16:17]
	v_fmac_f64_e32 v[150:151], s[2:3], v[148:149]
	v_add_f64 v[122:123], v[122:123], v[158:159]
	v_fma_f64 v[132:133], s[20:21], v[192:193], v[136:137]
	v_add_f64 v[158:159], v[134:135], v[174:175]
	v_fma_f64 v[134:135], v[148:149], s[0:1], -v[138:139]
	v_fma_f64 v[136:137], s[0:1], v[192:193], v[140:141]
	v_fmac_f64_e32 v[138:139], s[0:1], v[148:149]
	v_fma_f64 v[140:141], v[192:193], s[0:1], -v[140:141]
	v_fma_f64 v[146:147], s[2:3], v[192:193], v[168:169]
	v_add_f64 v[148:149], v[150:151], v[188:189]
	v_fma_f64 v[150:151], v[192:193], s[2:3], -v[168:169]
	v_add_lshl_u32 v210, v125, v142, 4
	v_add_f64 v[132:133], v[132:133], v[172:173]
	v_add_f64 v[134:135], v[134:135], v[176:177]
	;; [unrolled: 1-line block ×8, first 2 shown]
	ds_write_b128 v210, v[116:119]
	ds_write_b128 v210, v[120:123] offset:528
	ds_write_b128 v210, v[126:129] offset:1056
	ds_write_b128 v210, v[130:133] offset:1584
	ds_write_b128 v210, v[134:137] offset:2112
	ds_write_b128 v210, v[144:147] offset:2640
	ds_write_b128 v210, v[148:151] offset:3168
	ds_write_b128 v210, v[138:141] offset:3696
	ds_write_b128 v210, v[156:159] offset:4224
	ds_write_b128 v210, v[164:167] offset:4752
	ds_write_b128 v210, v[160:163] offset:5280
	s_waitcnt lgkmcnt(0)
	s_barrier
	ds_read_b128 v[172:175], v200
	ds_read_b128 v[168:171], v200 offset:2112
	ds_read_b128 v[188:191], v200 offset:5808
	ds_read_b128 v[176:179], v200 offset:7920
	ds_read_b128 v[192:195], v200 offset:11616
	ds_read_b128 v[180:183], v200 offset:13728
	ds_read_b128 v[196:199], v200 offset:17424
	ds_read_b128 v[184:187], v200 offset:19536
	s_movk_i32 s0, 0x63
	v_cmp_gt_u16_e64 s[0:1], s0, v202
	s_and_saveexec_b64 s[2:3], s[0:1]
	s_cbranch_execz .LBB0_7
; %bb.6:
	ds_read_b128 v[156:159], v200 offset:4224
	ds_read_b128 v[164:167], v200 offset:10032
	;; [unrolled: 1-line block ×4, first 2 shown]
.LBB0_7:
	s_or_b64 exec, exec, s[2:3]
	v_mad_u64_u32 v[116:117], s[2:3], v202, 48, s[10:11]
	s_movk_i32 s18, 0x1000
	v_add_co_u32_e64 v120, s[2:3], s18, v116
	s_mov_b64 s[14:15], 0x1600
	s_nop 0
	v_addc_co_u32_e64 v121, s[2:3], 0, v117, s[2:3]
	v_lshl_add_u64 v[118:119], v[116:117], 0, s[14:15]
	s_movk_i32 s2, 0x2000
	global_load_dwordx4 v[132:135], v[120:121], off offset:1536
	global_load_dwordx4 v[128:131], v[118:119], off offset:32
	;; [unrolled: 1-line block ×3, first 2 shown]
	s_mov_b64 s[16:17], 0x2ec0
	v_add_co_u32_e64 v118, s[2:3], s2, v116
	s_waitcnt vmcnt(2) lgkmcnt(5)
	v_mul_f64 v[214:215], v[188:189], v[134:135]
	v_addc_co_u32_e64 v119, s[2:3], 0, v117, s[2:3]
	v_lshl_add_u64 v[116:117], v[116:117], 0, s[16:17]
	global_load_dwordx4 v[140:143], v[118:119], off offset:3776
	global_load_dwordx4 v[148:151], v[116:117], off offset:16
	;; [unrolled: 1-line block ×3, first 2 shown]
	v_add_u32_e32 v116, 0xffffff9d, v202
	v_cndmask_b32_e64 v116, v116, v124, s[0:1]
	v_mul_hi_i32_i24_e32 v117, 48, v116
	v_mul_i32_i24_e32 v116, 48, v116
	v_lshl_add_u64 v[120:121], s[10:11], 0, v[116:117]
	v_add_co_u32_e64 v116, s[2:3], s18, v120
	s_waitcnt vmcnt(4) lgkmcnt(1)
	v_mul_f64 v[222:223], v[196:197], v[130:131]
	v_addc_co_u32_e64 v117, s[2:3], 0, v121, s[2:3]
	v_lshl_add_u64 v[120:121], v[120:121], 0, s[14:15]
	global_load_dwordx4 v[116:119], v[116:117], off offset:1536
	s_nop 0
	global_load_dwordx4 v[124:127], v[120:121], off offset:16
	s_nop 0
	global_load_dwordx4 v[120:123], v[120:121], off offset:32
	v_mul_f64 v[212:213], v[190:191], v[134:135]
	s_waitcnt vmcnt(6)
	v_mul_f64 v[216:217], v[194:195], v[138:139]
	v_mul_f64 v[220:221], v[198:199], v[130:131]
	v_fmac_f64_e32 v[214:215], v[190:191], v[132:133]
	v_fmac_f64_e32 v[222:223], v[198:199], v[128:129]
	v_mul_f64 v[218:219], v[192:193], v[138:139]
	v_fma_f64 v[188:189], v[188:189], v[132:133], -v[212:213]
	v_fma_f64 v[190:191], v[192:193], v[136:137], -v[216:217]
	;; [unrolled: 1-line block ×3, first 2 shown]
	v_fmac_f64_e32 v[218:219], v[194:195], v[136:137]
	s_waitcnt vmcnt(4)
	v_mul_f64 v[228:229], v[182:183], v[150:151]
	v_mul_f64 v[230:231], v[180:181], v[150:151]
	v_mul_f64 v[224:225], v[178:179], v[142:143]
	v_mul_f64 v[226:227], v[176:177], v[142:143]
	s_waitcnt vmcnt(3) lgkmcnt(0)
	v_mul_f64 v[232:233], v[186:187], v[146:147]
	v_mul_f64 v[234:235], v[184:185], v[146:147]
	v_fma_f64 v[196:197], v[180:181], v[148:149], -v[228:229]
	v_fmac_f64_e32 v[230:231], v[182:183], v[148:149]
	v_add_f64 v[180:181], v[214:215], -v[222:223]
	v_fma_f64 v[194:195], v[176:177], v[140:141], -v[224:225]
	v_fmac_f64_e32 v[226:227], v[178:179], v[140:141]
	v_fma_f64 v[198:199], v[184:185], v[144:145], -v[232:233]
	v_fmac_f64_e32 v[234:235], v[186:187], v[144:145]
	s_waitcnt vmcnt(1)
	v_mul_f64 v[220:221], v[160:161], v[126:127]
	s_waitcnt vmcnt(0)
	v_mul_f64 v[222:223], v[152:153], v[122:123]
	v_add_f64 v[182:183], v[172:173], -v[190:191]
	v_add_f64 v[178:179], v[188:189], -v[192:193]
	v_mul_f64 v[176:177], v[164:165], v[118:119]
	v_mul_f64 v[190:191], v[162:163], v[126:127]
	;; [unrolled: 1-line block ×3, first 2 shown]
	v_fmac_f64_e32 v[220:221], v[162:163], v[124:125]
	v_fmac_f64_e32 v[222:223], v[154:155], v[120:121]
	v_add_f64 v[154:155], v[168:169], -v[196:197]
	v_add_f64 v[162:163], v[170:171], -v[230:231]
	;; [unrolled: 1-line block ×3, first 2 shown]
	v_mul_f64 v[186:187], v[166:167], v[118:119]
	v_fmac_f64_e32 v[176:177], v[166:167], v[116:117]
	v_fma_f64 v[166:167], v[168:169], 2.0, -v[154:155]
	v_fma_f64 v[168:169], v[170:171], 2.0, -v[162:163]
	v_add_f64 v[170:171], v[194:195], -v[198:199]
	v_add_f64 v[198:199], v[226:227], -v[234:235]
	v_fma_f64 v[212:213], v[172:173], 2.0, -v[182:183]
	v_fma_f64 v[216:217], v[174:175], 2.0, -v[184:185]
	;; [unrolled: 1-line block ×4, first 2 shown]
	v_fma_f64 v[160:161], v[160:161], v[124:125], -v[190:191]
	v_fma_f64 v[152:153], v[152:153], v[120:121], -v[192:193]
	v_fma_f64 v[190:191], v[194:195], 2.0, -v[170:171]
	v_fma_f64 v[192:193], v[226:227], 2.0, -v[198:199]
	v_add_f64 v[172:173], v[182:183], -v[180:181]
	v_add_f64 v[174:175], v[184:185], v[178:179]
	v_fma_f64 v[164:165], v[164:165], v[116:117], -v[186:187]
	v_add_f64 v[178:179], v[212:213], -v[188:189]
	v_add_f64 v[180:181], v[216:217], -v[214:215]
	;; [unrolled: 1-line block ×4, first 2 shown]
	v_add_f64 v[214:215], v[162:163], v[170:171]
	v_fma_f64 v[186:187], v[212:213], 2.0, -v[178:179]
	v_fma_f64 v[194:195], v[166:167], 2.0, -v[190:191]
	;; [unrolled: 1-line block ×3, first 2 shown]
	v_add_f64 v[212:213], v[154:155], -v[198:199]
	v_fma_f64 v[218:219], v[162:163], 2.0, -v[214:215]
	v_add_f64 v[160:161], v[156:157], -v[160:161]
	v_add_f64 v[166:167], v[158:159], -v[220:221]
	;; [unrolled: 1-line block ×4, first 2 shown]
	v_fma_f64 v[188:189], v[216:217], 2.0, -v[180:181]
	v_fma_f64 v[216:217], v[154:155], 2.0, -v[212:213]
	v_add_f64 v[152:153], v[160:161], -v[168:169]
	v_add_f64 v[154:155], v[166:167], v[162:163]
	v_fma_f64 v[182:183], v[182:183], 2.0, -v[172:173]
	v_fma_f64 v[184:185], v[184:185], 2.0, -v[174:175]
	ds_write_b128 v200, v[186:189]
	ds_write_b128 v200, v[182:185] offset:5808
	ds_write_b128 v200, v[178:181] offset:11616
	;; [unrolled: 1-line block ×7, first 2 shown]
	s_and_saveexec_b64 s[2:3], s[0:1]
	s_cbranch_execz .LBB0_9
; %bb.8:
	v_fma_f64 v[172:173], v[166:167], 2.0, -v[154:155]
	v_fma_f64 v[170:171], v[160:161], 2.0, -v[152:153]
	v_fma_f64 v[166:167], v[158:159], 2.0, -v[166:167]
	v_fma_f64 v[158:159], v[176:177], 2.0, -v[168:169]
	v_fma_f64 v[160:161], v[156:157], 2.0, -v[160:161]
	v_fma_f64 v[156:157], v[164:165], 2.0, -v[162:163]
	v_add_f64 v[158:159], v[166:167], -v[158:159]
	v_add_f64 v[156:157], v[160:161], -v[156:157]
	v_fma_f64 v[166:167], v[166:167], 2.0, -v[158:159]
	v_fma_f64 v[164:165], v[160:161], 2.0, -v[156:157]
	ds_write_b128 v200, v[164:167] offset:4224
	ds_write_b128 v200, v[170:173] offset:10032
	ds_write_b128 v200, v[156:159] offset:15840
	ds_write_b128 v200, v[152:155] offset:21648
.LBB0_9:
	s_or_b64 exec, exec, s[2:3]
	v_mov_b32_e32 v201, 0
	v_lshl_add_u64 v[172:173], s[8:9], 0, v[200:201]
	s_mov_b64 s[2:3], 0x5ac0
	v_lshl_add_u64 v[160:161], v[172:173], 0, s[2:3]
	s_movk_i32 s2, 0x5000
	v_add_co_u32_e64 v156, s[2:3], s2, v172
	s_waitcnt lgkmcnt(0)
	s_nop 0
	v_addc_co_u32_e64 v157, s[2:3], 0, v173, s[2:3]
	s_movk_i32 s2, 0x6000
	s_nop 0
	v_add_co_u32_e64 v164, s[2:3], s2, v172
	s_barrier
	s_nop 0
	v_addc_co_u32_e64 v165, s[2:3], 0, v173, s[2:3]
	s_movk_i32 s2, 0x7000
	s_nop 0
	v_add_co_u32_e64 v174, s[2:3], s2, v172
	global_load_dwordx4 v[156:159], v[156:157], off offset:2752
	s_nop 0
	global_load_dwordx4 v[160:163], v[160:161], off offset:2112
	v_addc_co_u32_e64 v175, s[2:3], 0, v173, s[2:3]
	global_load_dwordx4 v[164:167], v[164:165], off offset:2880
	s_nop 0
	global_load_dwordx4 v[168:171], v[174:175], off offset:896
	s_nop 0
	global_load_dwordx4 v[174:177], v[174:175], off offset:3008
	s_mov_b32 s2, 0x8000
	v_add_co_u32_e64 v182, s[2:3], s2, v172
	s_mov_b32 s18, 0xf8bb580b
	s_nop 0
	v_addc_co_u32_e64 v183, s[2:3], 0, v173, s[2:3]
	s_mov_b32 s2, 0x9000
	s_nop 0
	v_add_co_u32_e64 v190, s[2:3], s2, v172
	global_load_dwordx4 v[178:181], v[182:183], off offset:1024
	s_nop 0
	v_addc_co_u32_e64 v191, s[2:3], 0, v173, s[2:3]
	global_load_dwordx4 v[186:189], v[190:191], off offset:1152
	s_mov_b32 s2, 0xa000
	global_load_dwordx4 v[182:185], v[182:183], off offset:3136
	v_add_co_u32_e64 v172, s[2:3], s2, v172
	global_load_dwordx4 v[190:193], v[190:191], off offset:3264
	s_nop 0
	v_addc_co_u32_e64 v173, s[2:3], 0, v173, s[2:3]
	global_load_dwordx4 v[194:197], v[172:173], off offset:1280
	global_load_dwordx4 v[212:215], v[172:173], off offset:3392
	ds_read_b128 v[216:219], v200
	ds_read_b128 v[220:223], v200 offset:2112
	ds_read_b128 v[224:227], v200 offset:4224
	;; [unrolled: 1-line block ×5, first 2 shown]
	s_mov_b32 s8, 0x8eee2c13
	s_mov_b32 s2, 0x43842ef
	;; [unrolled: 1-line block ×29, first 2 shown]
	s_waitcnt vmcnt(10) lgkmcnt(5)
	v_mul_f64 v[198:199], v[218:219], v[158:159]
	v_mul_f64 v[172:173], v[216:217], v[158:159]
	s_waitcnt vmcnt(9) lgkmcnt(4)
	v_mul_f64 v[240:241], v[222:223], v[162:163]
	v_mul_f64 v[158:159], v[220:221], v[162:163]
	;; [unrolled: 3-line block ×4, first 2 shown]
	v_fma_f64 v[170:171], v[216:217], v[156:157], -v[198:199]
	v_fmac_f64_e32 v[172:173], v[218:219], v[156:157]
	v_fma_f64 v[156:157], v[220:221], v[160:161], -v[240:241]
	v_fmac_f64_e32 v[158:159], v[222:223], v[160:161]
	;; [unrolled: 2-line block ×3, first 2 shown]
	ds_write_b128 v200, v[170:173]
	ds_write_b128 v200, v[156:159] offset:2112
	ds_write_b128 v200, v[160:163] offset:4224
	ds_read_b128 v[156:159], v200 offset:12672
	s_waitcnt vmcnt(6) lgkmcnt(5)
	v_mul_f64 v[248:249], v[234:235], v[176:177]
	v_mul_f64 v[242:243], v[232:233], v[176:177]
	s_waitcnt vmcnt(5) lgkmcnt(4)
	v_mul_f64 v[250:251], v[238:239], v[180:181]
	v_mul_f64 v[176:177], v[236:237], v[180:181]
	v_fma_f64 v[164:165], v[228:229], v[168:169], -v[246:247]
	v_fmac_f64_e32 v[166:167], v[230:231], v[168:169]
	v_fma_f64 v[240:241], v[232:233], v[174:175], -v[248:249]
	v_fmac_f64_e32 v[242:243], v[234:235], v[174:175]
	v_fma_f64 v[174:175], v[236:237], v[178:179], -v[250:251]
	v_fmac_f64_e32 v[176:177], v[238:239], v[178:179]
	ds_write_b128 v200, v[164:167] offset:6336
	ds_write_b128 v200, v[240:243] offset:8448
	;; [unrolled: 1-line block ×3, first 2 shown]
	s_waitcnt vmcnt(3) lgkmcnt(3)
	v_mul_f64 v[164:165], v[158:159], v[184:185]
	v_mul_f64 v[166:167], v[156:157], v[184:185]
	ds_read_b128 v[160:163], v200 offset:14784
	v_fma_f64 v[164:165], v[156:157], v[182:183], -v[164:165]
	v_fmac_f64_e32 v[166:167], v[158:159], v[182:183]
	ds_write_b128 v200, v[164:167] offset:12672
	ds_read_b128 v[164:167], v200 offset:16896
	s_waitcnt lgkmcnt(2)
	v_mul_f64 v[156:157], v[162:163], v[188:189]
	v_mul_f64 v[158:159], v[160:161], v[188:189]
	v_fma_f64 v[156:157], v[160:161], v[186:187], -v[156:157]
	v_fmac_f64_e32 v[158:159], v[162:163], v[186:187]
	s_waitcnt vmcnt(2) lgkmcnt(0)
	v_mul_f64 v[160:161], v[166:167], v[192:193]
	v_mul_f64 v[162:163], v[164:165], v[192:193]
	ds_write_b128 v200, v[156:159] offset:14784
	ds_read_b128 v[156:159], v200 offset:19008
	v_fma_f64 v[160:161], v[164:165], v[190:191], -v[160:161]
	v_fmac_f64_e32 v[162:163], v[166:167], v[190:191]
	ds_write_b128 v200, v[160:163] offset:16896
	ds_read_b128 v[160:163], v200 offset:21120
	s_waitcnt vmcnt(1) lgkmcnt(2)
	v_mul_f64 v[164:165], v[158:159], v[196:197]
	v_mul_f64 v[166:167], v[156:157], v[196:197]
	v_fma_f64 v[164:165], v[156:157], v[194:195], -v[164:165]
	v_fmac_f64_e32 v[166:167], v[158:159], v[194:195]
	s_waitcnt vmcnt(0) lgkmcnt(0)
	v_mul_f64 v[156:157], v[162:163], v[214:215]
	v_mul_f64 v[158:159], v[160:161], v[214:215]
	v_fma_f64 v[156:157], v[160:161], v[212:213], -v[156:157]
	v_fmac_f64_e32 v[158:159], v[162:163], v[212:213]
	ds_write_b128 v200, v[164:167] offset:19008
	ds_write_b128 v200, v[156:159] offset:21120
	s_waitcnt lgkmcnt(0)
	s_barrier
	ds_read_b128 v[180:183], v200
	ds_read_b128 v[184:187], v200 offset:2112
	ds_read_b128 v[188:191], v200 offset:4224
	;; [unrolled: 1-line block ×10, first 2 shown]
	s_waitcnt lgkmcnt(9)
	v_add_f64 v[160:161], v[180:181], v[184:185]
	v_add_f64 v[162:163], v[182:183], v[186:187]
	s_waitcnt lgkmcnt(8)
	v_add_f64 v[160:161], v[160:161], v[188:189]
	v_add_f64 v[162:163], v[162:163], v[190:191]
	;; [unrolled: 3-line block ×8, first 2 shown]
	s_waitcnt lgkmcnt(1)
	v_add_f64 v[160:161], v[160:161], v[196:197]
	s_waitcnt lgkmcnt(0)
	v_add_f64 v[218:219], v[186:187], v[214:215]
	v_add_f64 v[186:187], v[186:187], -v[214:215]
	v_add_f64 v[162:163], v[162:163], v[198:199]
	v_add_f64 v[160:161], v[160:161], v[212:213]
	;; [unrolled: 1-line block ×3, first 2 shown]
	v_add_f64 v[184:185], v[184:185], -v[212:213]
	v_mul_f64 v[212:213], v[186:187], s[18:19]
	v_mul_f64 v[224:225], v[186:187], s[8:9]
	v_mul_f64 v[232:233], v[186:187], s[2:3]
	v_mul_f64 v[240:241], v[186:187], s[26:27]
	v_mul_f64 v[186:187], v[186:187], s[34:35]
	v_add_f64 v[162:163], v[162:163], v[214:215]
	v_fma_f64 v[214:215], s[20:21], v[216:217], v[212:213]
	v_fma_f64 v[212:213], v[216:217], s[20:21], -v[212:213]
	v_fma_f64 v[226:227], s[10:11], v[216:217], v[224:225]
	v_fma_f64 v[224:225], v[216:217], s[10:11], -v[224:225]
	;; [unrolled: 2-line block ×5, first 2 shown]
	v_add_f64 v[214:215], v[180:181], v[214:215]
	v_mul_f64 v[220:221], v[218:219], s[20:21]
	v_add_f64 v[212:213], v[180:181], v[212:213]
	v_add_f64 v[226:227], v[180:181], v[226:227]
	v_mul_f64 v[228:229], v[218:219], s[10:11]
	v_add_f64 v[224:225], v[180:181], v[224:225]
	;; [unrolled: 3-line block ×5, first 2 shown]
	v_add_f64 v[186:187], v[190:191], v[198:199]
	v_add_f64 v[190:191], v[190:191], -v[198:199]
	v_fma_f64 v[222:223], s[22:23], v[184:185], v[220:221]
	v_fmac_f64_e32 v[220:221], s[18:19], v[184:185]
	v_fma_f64 v[230:231], s[14:15], v[184:185], v[228:229]
	v_fmac_f64_e32 v[228:229], s[8:9], v[184:185]
	v_fma_f64 v[238:239], s[24:25], v[184:185], v[236:237]
	v_fmac_f64_e32 v[236:237], s[2:3], v[184:185]
	v_fma_f64 v[246:247], s[30:31], v[184:185], v[244:245]
	v_fmac_f64_e32 v[244:245], s[26:27], v[184:185]
	v_fma_f64 v[250:251], s[38:39], v[184:185], v[218:219]
	v_fmac_f64_e32 v[218:219], s[34:35], v[184:185]
	v_add_f64 v[184:185], v[188:189], v[196:197]
	v_add_f64 v[188:189], v[188:189], -v[196:197]
	v_mul_f64 v[196:197], v[190:191], s[8:9]
	v_fma_f64 v[198:199], s[10:11], v[184:185], v[196:197]
	v_add_f64 v[198:199], v[198:199], v[214:215]
	v_mul_f64 v[214:215], v[186:187], s[10:11]
	v_add_f64 v[220:221], v[182:183], v[220:221]
	v_fma_f64 v[216:217], s[14:15], v[188:189], v[214:215]
	v_fma_f64 v[196:197], v[184:185], s[10:11], -v[196:197]
	v_fmac_f64_e32 v[214:215], s[8:9], v[188:189]
	v_add_f64 v[196:197], v[196:197], v[212:213]
	v_add_f64 v[212:213], v[214:215], v[220:221]
	v_mul_f64 v[214:215], v[190:191], s[26:27]
	v_add_f64 v[222:223], v[182:183], v[222:223]
	v_add_f64 v[230:231], v[182:183], v[230:231]
	;; [unrolled: 1-line block ×9, first 2 shown]
	v_fma_f64 v[218:219], s[28:29], v[184:185], v[214:215]
	v_mul_f64 v[220:221], v[186:187], s[28:29]
	v_fma_f64 v[214:215], v[184:185], s[28:29], -v[214:215]
	v_add_f64 v[216:217], v[216:217], v[222:223]
	v_fma_f64 v[222:223], s[30:31], v[188:189], v[220:221]
	v_add_f64 v[214:215], v[214:215], v[224:225]
	v_fmac_f64_e32 v[220:221], s[26:27], v[188:189]
	v_mul_f64 v[224:225], v[190:191], s[38:39]
	v_add_f64 v[218:219], v[218:219], v[226:227]
	v_add_f64 v[220:221], v[220:221], v[228:229]
	v_fma_f64 v[226:227], s[36:37], v[184:185], v[224:225]
	v_mul_f64 v[228:229], v[186:187], s[36:37]
	v_fma_f64 v[224:225], v[184:185], s[36:37], -v[224:225]
	v_add_f64 v[222:223], v[222:223], v[230:231]
	v_fma_f64 v[230:231], s[34:35], v[188:189], v[228:229]
	v_add_f64 v[224:225], v[224:225], v[232:233]
	v_fmac_f64_e32 v[228:229], s[38:39], v[188:189]
	v_mul_f64 v[232:233], v[190:191], s[24:25]
	v_add_f64 v[226:227], v[226:227], v[234:235]
	v_add_f64 v[228:229], v[228:229], v[236:237]
	v_fma_f64 v[234:235], s[16:17], v[184:185], v[232:233]
	v_mul_f64 v[236:237], v[186:187], s[16:17]
	v_mul_f64 v[186:187], v[186:187], s[20:21]
	v_add_f64 v[234:235], v[234:235], v[242:243]
	v_fma_f64 v[232:233], v[184:185], s[16:17], -v[232:233]
	v_mul_f64 v[190:191], v[190:191], s[22:23]
	v_fma_f64 v[242:243], s[18:19], v[188:189], v[186:187]
	v_fmac_f64_e32 v[186:187], s[22:23], v[188:189]
	v_add_f64 v[232:233], v[232:233], v[240:241]
	v_fma_f64 v[240:241], s[20:21], v[184:185], v[190:191]
	v_fma_f64 v[184:185], v[184:185], s[20:21], -v[190:191]
	v_add_f64 v[182:183], v[186:187], v[182:183]
	v_add_f64 v[186:187], v[178:179], v[194:195]
	v_add_f64 v[178:179], v[178:179], -v[194:195]
	v_add_f64 v[230:231], v[230:231], v[238:239]
	v_fma_f64 v[238:239], s[2:3], v[188:189], v[236:237]
	v_fmac_f64_e32 v[236:237], s[24:25], v[188:189]
	v_add_f64 v[180:181], v[184:185], v[180:181]
	v_add_f64 v[184:185], v[176:177], v[192:193]
	v_mul_f64 v[188:189], v[178:179], s[2:3]
	v_add_f64 v[176:177], v[176:177], -v[192:193]
	v_fma_f64 v[190:191], s[16:17], v[184:185], v[188:189]
	v_mul_f64 v[192:193], v[186:187], s[16:17]
	v_fma_f64 v[188:189], v[184:185], s[16:17], -v[188:189]
	v_fma_f64 v[194:195], s[24:25], v[176:177], v[192:193]
	v_add_f64 v[188:189], v[188:189], v[196:197]
	v_fmac_f64_e32 v[192:193], s[2:3], v[176:177]
	v_mul_f64 v[196:197], v[178:179], s[38:39]
	v_add_f64 v[190:191], v[190:191], v[198:199]
	v_add_f64 v[192:193], v[192:193], v[212:213]
	v_fma_f64 v[198:199], s[36:37], v[184:185], v[196:197]
	v_mul_f64 v[212:213], v[186:187], s[36:37]
	v_fma_f64 v[196:197], v[184:185], s[36:37], -v[196:197]
	v_add_f64 v[194:195], v[194:195], v[216:217]
	v_fma_f64 v[216:217], s[34:35], v[176:177], v[212:213]
	v_add_f64 v[196:197], v[196:197], v[214:215]
	v_fmac_f64_e32 v[212:213], s[38:39], v[176:177]
	v_mul_f64 v[214:215], v[178:179], s[14:15]
	v_add_f64 v[198:199], v[198:199], v[218:219]
	v_add_f64 v[212:213], v[212:213], v[220:221]
	v_fma_f64 v[218:219], s[10:11], v[184:185], v[214:215]
	v_mul_f64 v[220:221], v[186:187], s[10:11]
	v_fma_f64 v[214:215], v[184:185], s[10:11], -v[214:215]
	v_add_f64 v[216:217], v[216:217], v[222:223]
	v_fma_f64 v[222:223], s[8:9], v[176:177], v[220:221]
	v_add_f64 v[214:215], v[214:215], v[224:225]
	v_fmac_f64_e32 v[220:221], s[14:15], v[176:177]
	v_mul_f64 v[224:225], v[178:179], s[18:19]
	v_add_f64 v[218:219], v[218:219], v[226:227]
	v_add_f64 v[220:221], v[220:221], v[228:229]
	v_fma_f64 v[226:227], s[20:21], v[184:185], v[224:225]
	v_mul_f64 v[228:229], v[186:187], s[20:21]
	v_mul_f64 v[186:187], v[186:187], s[28:29]
	v_add_f64 v[226:227], v[226:227], v[234:235]
	v_fma_f64 v[224:225], v[184:185], s[20:21], -v[224:225]
	v_mul_f64 v[178:179], v[178:179], s[26:27]
	v_fma_f64 v[234:235], s[30:31], v[176:177], v[186:187]
	v_fmac_f64_e32 v[186:187], s[26:27], v[176:177]
	v_add_f64 v[222:223], v[222:223], v[230:231]
	v_fma_f64 v[230:231], s[22:23], v[176:177], v[228:229]
	v_add_f64 v[224:225], v[224:225], v[232:233]
	v_fmac_f64_e32 v[228:229], s[18:19], v[176:177]
	v_fma_f64 v[232:233], s[28:29], v[184:185], v[178:179]
	v_fma_f64 v[178:179], v[184:185], s[28:29], -v[178:179]
	v_add_f64 v[176:177], v[186:187], v[182:183]
	v_add_f64 v[182:183], v[170:171], v[174:175]
	v_add_f64 v[170:171], v[170:171], -v[174:175]
	v_add_f64 v[178:179], v[178:179], v[180:181]
	v_add_f64 v[180:181], v[168:169], v[172:173]
	v_add_f64 v[168:169], v[168:169], -v[172:173]
	v_mul_f64 v[172:173], v[170:171], s[26:27]
	v_fma_f64 v[174:175], s[28:29], v[180:181], v[172:173]
	v_fma_f64 v[172:173], v[180:181], s[28:29], -v[172:173]
	v_mul_f64 v[184:185], v[182:183], s[28:29]
	v_add_f64 v[172:173], v[172:173], v[188:189]
	v_mul_f64 v[188:189], v[170:171], s[24:25]
	v_add_f64 v[174:175], v[174:175], v[190:191]
	v_fma_f64 v[186:187], s[30:31], v[168:169], v[184:185]
	v_fmac_f64_e32 v[184:185], s[26:27], v[168:169]
	v_fma_f64 v[190:191], s[16:17], v[180:181], v[188:189]
	v_fma_f64 v[188:189], v[180:181], s[16:17], -v[188:189]
	v_add_f64 v[184:185], v[184:185], v[192:193]
	v_mul_f64 v[192:193], v[182:183], s[16:17]
	v_add_f64 v[188:189], v[188:189], v[196:197]
	v_mul_f64 v[196:197], v[170:171], s[18:19]
	v_add_f64 v[186:187], v[186:187], v[194:195]
	v_add_f64 v[190:191], v[190:191], v[198:199]
	v_fma_f64 v[194:195], s[2:3], v[168:169], v[192:193]
	v_fmac_f64_e32 v[192:193], s[24:25], v[168:169]
	v_fma_f64 v[198:199], s[20:21], v[180:181], v[196:197]
	v_fma_f64 v[196:197], v[180:181], s[20:21], -v[196:197]
	v_add_f64 v[192:193], v[192:193], v[212:213]
	v_mul_f64 v[212:213], v[182:183], s[20:21]
	v_add_f64 v[196:197], v[196:197], v[214:215]
	v_mul_f64 v[214:215], v[170:171], s[34:35]
	v_add_f64 v[238:239], v[238:239], v[246:247]
	v_add_f64 v[240:241], v[240:241], v[248:249]
	;; [unrolled: 1-line block ×4, first 2 shown]
	v_fma_f64 v[216:217], s[22:23], v[168:169], v[212:213]
	v_fmac_f64_e32 v[212:213], s[18:19], v[168:169]
	v_fma_f64 v[218:219], s[36:37], v[180:181], v[214:215]
	v_fma_f64 v[214:215], v[180:181], s[36:37], -v[214:215]
	v_mul_f64 v[170:171], v[170:171], s[14:15]
	v_add_f64 v[236:237], v[236:237], v[244:245]
	v_add_f64 v[242:243], v[242:243], v[250:251]
	;; [unrolled: 1-line block ×5, first 2 shown]
	v_mul_f64 v[220:221], v[182:183], s[36:37]
	v_add_f64 v[214:215], v[214:215], v[224:225]
	v_fma_f64 v[224:225], s[10:11], v[180:181], v[170:171]
	v_mul_f64 v[182:183], v[182:183], s[10:11]
	v_add_f64 v[238:239], v[158:159], -v[166:167]
	v_add_f64 v[228:229], v[228:229], v[236:237]
	v_add_f64 v[234:235], v[234:235], v[242:243]
	;; [unrolled: 1-line block ×4, first 2 shown]
	v_fma_f64 v[226:227], s[8:9], v[168:169], v[182:183]
	v_add_f64 v[232:233], v[156:157], v[164:165]
	v_add_f64 v[236:237], v[156:157], -v[164:165]
	v_mul_f64 v[156:157], v[238:239], s[34:35]
	v_add_f64 v[226:227], v[226:227], v[234:235]
	v_add_f64 v[234:235], v[158:159], v[166:167]
	v_fma_f64 v[158:159], s[36:37], v[232:233], v[156:157]
	v_add_f64 v[164:165], v[158:159], v[174:175]
	v_mul_f64 v[158:159], v[234:235], s[36:37]
	v_fma_f64 v[156:157], v[232:233], s[36:37], -v[156:157]
	v_add_f64 v[216:217], v[216:217], v[222:223]
	v_fma_f64 v[222:223], s[38:39], v[168:169], v[220:221]
	v_fmac_f64_e32 v[220:221], s[34:35], v[168:169]
	v_fma_f64 v[170:171], v[180:181], s[10:11], -v[170:171]
	v_fmac_f64_e32 v[182:183], s[14:15], v[168:169]
	v_fma_f64 v[166:167], s[38:39], v[236:237], v[158:159]
	v_add_f64 v[168:169], v[156:157], v[172:173]
	v_fmac_f64_e32 v[158:159], s[34:35], v[236:237]
	v_mul_f64 v[156:157], v[238:239], s[22:23]
	v_add_f64 v[220:221], v[220:221], v[228:229]
	v_add_f64 v[228:229], v[170:171], v[178:179]
	;; [unrolled: 1-line block ×3, first 2 shown]
	v_fma_f64 v[158:159], s[20:21], v[232:233], v[156:157]
	v_mul_f64 v[180:181], v[238:239], s[26:27]
	v_add_f64 v[222:223], v[222:223], v[230:231]
	v_add_f64 v[230:231], v[182:183], v[176:177]
	;; [unrolled: 1-line block ×3, first 2 shown]
	v_mul_f64 v[158:159], v[234:235], s[20:21]
	v_fma_f64 v[156:157], v[232:233], s[20:21], -v[156:157]
	v_fma_f64 v[176:177], s[28:29], v[232:233], v[180:181]
	v_fma_f64 v[180:181], v[232:233], s[28:29], -v[180:181]
	v_fma_f64 v[174:175], s[18:19], v[236:237], v[158:159]
	v_add_f64 v[156:157], v[156:157], v[188:189]
	v_fmac_f64_e32 v[158:159], s[22:23], v[236:237]
	v_add_f64 v[176:177], v[176:177], v[198:199]
	v_mul_f64 v[182:183], v[234:235], s[28:29]
	v_add_f64 v[180:181], v[180:181], v[196:197]
	v_mul_f64 v[188:189], v[238:239], s[14:15]
	v_mul_f64 v[190:191], v[234:235], s[10:11]
	v_mul_f64 v[196:197], v[238:239], s[2:3]
	v_mul_f64 v[198:199], v[234:235], s[16:17]
	v_add_f64 v[166:167], v[166:167], v[186:187]
	v_add_f64 v[174:175], v[174:175], v[194:195]
	;; [unrolled: 1-line block ×3, first 2 shown]
	v_fma_f64 v[178:179], s[30:31], v[236:237], v[182:183]
	v_fmac_f64_e32 v[182:183], s[26:27], v[236:237]
	v_fma_f64 v[184:185], s[10:11], v[232:233], v[188:189]
	v_fma_f64 v[186:187], s[8:9], v[236:237], v[190:191]
	v_fma_f64 v[188:189], v[232:233], s[10:11], -v[188:189]
	v_fmac_f64_e32 v[190:191], s[14:15], v[236:237]
	v_fma_f64 v[192:193], s[16:17], v[232:233], v[196:197]
	v_fma_f64 v[194:195], s[24:25], v[236:237], v[198:199]
	v_fma_f64 v[196:197], v[232:233], s[16:17], -v[196:197]
	v_fmac_f64_e32 v[198:199], s[2:3], v[236:237]
	v_add_f64 v[178:179], v[178:179], v[216:217]
	v_add_f64 v[182:183], v[182:183], v[212:213]
	v_add_f64 v[184:185], v[184:185], v[218:219]
	v_add_f64 v[186:187], v[186:187], v[222:223]
	v_add_f64 v[188:189], v[188:189], v[214:215]
	v_add_f64 v[190:191], v[190:191], v[220:221]
	v_add_f64 v[192:193], v[192:193], v[224:225]
	v_add_f64 v[194:195], v[194:195], v[226:227]
	v_add_f64 v[196:197], v[196:197], v[228:229]
	v_add_f64 v[198:199], v[198:199], v[230:231]
	s_barrier
	ds_write_b128 v206, v[160:163]
	ds_write_b128 v206, v[164:167] offset:16
	ds_write_b128 v206, v[172:175] offset:32
	;; [unrolled: 1-line block ×10, first 2 shown]
	s_waitcnt lgkmcnt(0)
	s_barrier
	ds_read_b128 v[172:175], v200
	ds_read_b128 v[164:167], v200 offset:2112
	ds_read_b128 v[188:191], v200 offset:15488
	;; [unrolled: 1-line block ×8, first 2 shown]
	s_and_saveexec_b64 s[2:3], vcc
	s_cbranch_execz .LBB0_11
; %bb.10:
	ds_read_b128 v[156:159], v200 offset:6336
	ds_read_b128 v[168:171], v200 offset:14080
	;; [unrolled: 1-line block ×3, first 2 shown]
.LBB0_11:
	s_or_b64 exec, exec, s[2:3]
	s_waitcnt lgkmcnt(4)
	v_mul_f64 v[212:213], v[74:75], v[198:199]
	v_mul_f64 v[74:75], v[74:75], v[196:197]
	v_fmac_f64_e32 v[212:213], v[72:73], v[196:197]
	v_fma_f64 v[72:73], v[72:73], v[198:199], -v[74:75]
	v_mul_f64 v[74:75], v[70:71], v[190:191]
	v_fmac_f64_e32 v[74:75], v[68:69], v[188:189]
	v_mul_f64 v[70:71], v[70:71], v[188:189]
	s_waitcnt lgkmcnt(2)
	v_mul_f64 v[188:189], v[66:67], v[194:195]
	v_fmac_f64_e32 v[188:189], v[64:65], v[192:193]
	v_mul_f64 v[66:67], v[66:67], v[192:193]
	v_mul_f64 v[192:193], v[54:55], v[186:187]
	;; [unrolled: 1-line block ×3, first 2 shown]
	v_fmac_f64_e32 v[192:193], v[52:53], v[184:185]
	v_fma_f64 v[184:185], v[52:53], v[186:187], -v[54:55]
	s_waitcnt lgkmcnt(1)
	v_mul_f64 v[186:187], v[62:63], v[182:183]
	v_mul_f64 v[52:53], v[62:63], v[180:181]
	v_fmac_f64_e32 v[186:187], v[60:61], v[180:181]
	v_fma_f64 v[60:61], v[60:61], v[182:183], -v[52:53]
	s_waitcnt lgkmcnt(0)
	v_mul_f64 v[62:63], v[58:59], v[178:179]
	v_mul_f64 v[52:53], v[58:59], v[176:177]
	v_fmac_f64_e32 v[62:63], v[56:57], v[176:177]
	v_fma_f64 v[56:57], v[56:57], v[178:179], -v[52:53]
	v_mul_f64 v[52:53], v[50:51], v[170:171]
	v_mul_f64 v[50:51], v[50:51], v[168:169]
	v_fmac_f64_e32 v[52:53], v[48:49], v[168:169]
	v_fma_f64 v[50:51], v[48:49], v[170:171], -v[50:51]
	;; [unrolled: 4-line block ×3, first 2 shown]
	v_add_f64 v[44:45], v[172:173], v[212:213]
	v_fma_f64 v[70:71], v[68:69], v[190:191], -v[70:71]
	v_fma_f64 v[190:191], v[64:65], v[194:195], -v[66:67]
	v_add_f64 v[64:65], v[44:45], v[74:75]
	v_add_f64 v[44:45], v[212:213], v[74:75]
	s_mov_b32 s8, 0xe8584caa
	v_fmac_f64_e32 v[172:173], -0.5, v[44:45]
	v_add_f64 v[44:45], v[72:73], -v[70:71]
	s_mov_b32 s9, 0xbfebb67a
	s_mov_b32 s3, 0x3febb67a
	s_mov_b32 s2, s8
	v_fma_f64 v[68:69], s[8:9], v[44:45], v[172:173]
	v_fmac_f64_e32 v[172:173], s[2:3], v[44:45]
	v_add_f64 v[44:45], v[174:175], v[72:73]
	v_add_f64 v[66:67], v[44:45], v[70:71]
	v_add_f64 v[44:45], v[72:73], v[70:71]
	v_fmac_f64_e32 v[174:175], -0.5, v[44:45]
	v_add_f64 v[44:45], v[212:213], -v[74:75]
	v_fma_f64 v[70:71], s[2:3], v[44:45], v[174:175]
	v_fmac_f64_e32 v[174:175], s[8:9], v[44:45]
	v_add_f64 v[44:45], v[164:165], v[188:189]
	v_add_f64 v[72:73], v[44:45], v[192:193]
	v_add_f64 v[44:45], v[188:189], v[192:193]
	v_fmac_f64_e32 v[164:165], -0.5, v[44:45]
	v_add_f64 v[44:45], v[190:191], -v[184:185]
	;; [unrolled: 7-line block ×5, first 2 shown]
	v_fma_f64 v[178:179], s[2:3], v[44:45], v[162:163]
	v_fmac_f64_e32 v[162:163], s[8:9], v[44:45]
	v_add_f64 v[44:45], v[48:49], v[52:53]
	v_add_f64 v[46:47], v[54:55], v[50:51]
	v_fma_f64 v[56:57], -0.5, v[44:45], v[156:157]
	v_add_f64 v[58:59], v[50:51], -v[54:55]
	v_fma_f64 v[60:61], -0.5, v[46:47], v[158:159]
	v_add_f64 v[62:63], v[52:53], -v[48:49]
	v_fma_f64 v[44:45], s[2:3], v[58:59], v[56:57]
	v_fma_f64 v[46:47], s[8:9], v[62:63], v[60:61]
	s_barrier
	ds_write_b128 v207, v[64:67]
	ds_write_b128 v207, v[68:71] offset:176
	ds_write_b128 v207, v[172:175] offset:352
	ds_write_b128 v208, v[72:75]
	ds_write_b128 v208, v[152:155] offset:176
	ds_write_b128 v208, v[164:167] offset:352
	;; [unrolled: 3-line block ×3, first 2 shown]
	s_and_saveexec_b64 s[8:9], vcc
	s_cbranch_execz .LBB0_13
; %bb.12:
	v_add_f64 v[52:53], v[156:157], v[52:53]
	v_add_f64 v[50:51], v[50:51], v[158:159]
	;; [unrolled: 1-line block ×3, first 2 shown]
	v_mad_legacy_u16 v52, v203, 33, v205
	v_mul_f64 v[64:65], v[58:59], s[2:3]
	v_mul_f64 v[58:59], v[62:63], s[2:3]
	v_add_f64 v[50:51], v[54:55], v[50:51]
	v_lshlrev_b32_e32 v52, 4, v52
	v_add_f64 v[58:59], v[58:59], v[60:61]
	v_add_f64 v[56:57], v[56:57], -v[64:65]
	ds_write_b128 v52, v[48:51]
	ds_write_b128 v52, v[56:59] offset:176
	ds_write_b128 v52, v[44:47] offset:352
.LBB0_13:
	s_or_b64 exec, exec, s[8:9]
	s_waitcnt lgkmcnt(0)
	s_barrier
	ds_read_b128 v[48:51], v200
	ds_read_b128 v[52:55], v200 offset:2112
	ds_read_b128 v[56:59], v200 offset:4224
	;; [unrolled: 1-line block ×10, first 2 shown]
	s_waitcnt lgkmcnt(9)
	v_mul_f64 v[74:75], v[90:91], v[54:55]
	v_fmac_f64_e32 v[74:75], v[88:89], v[52:53]
	v_mul_f64 v[52:53], v[90:91], v[52:53]
	v_fma_f64 v[88:89], v[88:89], v[54:55], -v[52:53]
	s_waitcnt lgkmcnt(8)
	v_mul_f64 v[90:91], v[86:87], v[58:59]
	v_mul_f64 v[52:53], v[86:87], v[56:57]
	v_fmac_f64_e32 v[90:91], v[84:85], v[56:57]
	v_fma_f64 v[84:85], v[84:85], v[58:59], -v[52:53]
	s_waitcnt lgkmcnt(7)
	v_mul_f64 v[86:87], v[82:83], v[62:63]
	v_mul_f64 v[52:53], v[82:83], v[60:61]
	v_fmac_f64_e32 v[86:87], v[80:81], v[60:61]
	;; [unrolled: 5-line block ×3, first 2 shown]
	v_fma_f64 v[66:67], v[76:77], v[68:69], -v[52:53]
	s_waitcnt lgkmcnt(5)
	v_mul_f64 v[52:53], v[106:107], v[72:73]
	s_waitcnt lgkmcnt(3)
	v_mul_f64 v[60:61], v[98:99], v[156:157]
	v_fmac_f64_e32 v[52:53], v[104:105], v[70:71]
	v_mul_f64 v[54:55], v[106:107], v[70:71]
	v_fma_f64 v[70:71], v[96:97], v[158:159], -v[60:61]
	s_waitcnt lgkmcnt(2)
	v_mul_f64 v[60:61], v[94:95], v[160:161]
	v_fma_f64 v[76:77], v[92:93], v[162:163], -v[60:61]
	s_waitcnt lgkmcnt(1)
	;; [unrolled: 3-line block ×3, first 2 shown]
	v_mul_f64 v[60:61], v[110:111], v[168:169]
	v_fma_f64 v[54:55], v[104:105], v[72:73], -v[54:55]
	v_mul_f64 v[72:73], v[94:95], v[162:163]
	v_fma_f64 v[94:95], v[108:109], v[170:171], -v[60:61]
	v_add_f64 v[60:61], v[48:49], v[74:75]
	v_add_f64 v[62:63], v[50:51], v[88:89]
	;; [unrolled: 1-line block ×5, first 2 shown]
	v_mul_f64 v[56:57], v[102:103], v[154:155]
	v_add_f64 v[62:63], v[62:63], v[80:81]
	v_add_f64 v[60:61], v[60:61], v[64:65]
	v_fmac_f64_e32 v[56:57], v[100:101], v[152:153]
	v_mul_f64 v[58:59], v[102:103], v[152:153]
	v_mul_f64 v[68:69], v[98:99], v[158:159]
	v_add_f64 v[62:63], v[62:63], v[66:67]
	v_add_f64 v[60:61], v[60:61], v[52:53]
	v_fma_f64 v[58:59], v[100:101], v[154:155], -v[58:59]
	v_fmac_f64_e32 v[68:69], v[96:97], v[156:157]
	v_add_f64 v[62:63], v[62:63], v[54:55]
	v_add_f64 v[60:61], v[60:61], v[56:57]
	v_fmac_f64_e32 v[72:73], v[92:93], v[160:161]
	v_mul_f64 v[78:79], v[114:115], v[166:167]
	v_add_f64 v[62:63], v[62:63], v[58:59]
	v_add_f64 v[60:61], v[60:61], v[68:69]
	v_fmac_f64_e32 v[78:79], v[112:113], v[164:165]
	v_mul_f64 v[92:93], v[110:111], v[170:171]
	v_add_f64 v[62:63], v[62:63], v[70:71]
	v_add_f64 v[60:61], v[60:61], v[72:73]
	s_mov_b32 s8, 0x8eee2c13
	s_mov_b32 s2, 0x43842ef
	v_fmac_f64_e32 v[92:93], v[108:109], v[168:169]
	v_add_f64 v[62:63], v[62:63], v[76:77]
	v_add_f64 v[60:61], v[60:61], v[78:79]
	;; [unrolled: 1-line block ×3, first 2 shown]
	v_add_f64 v[88:89], v[88:89], -v[94:95]
	s_mov_b32 s9, 0xbfed1bb4
	s_mov_b32 s3, 0xbfefac9e
	v_add_f64 v[62:63], v[62:63], v[82:83]
	v_add_f64 v[60:61], v[60:61], v[92:93]
	;; [unrolled: 1-line block ×3, first 2 shown]
	v_add_f64 v[74:75], v[74:75], -v[92:93]
	v_mul_f64 v[92:93], v[88:89], s[18:19]
	v_mul_f64 v[104:105], v[88:89], s[8:9]
	;; [unrolled: 1-line block ×5, first 2 shown]
	v_add_f64 v[62:63], v[62:63], v[94:95]
	v_fma_f64 v[94:95], s[20:21], v[96:97], v[92:93]
	v_fma_f64 v[92:93], v[96:97], s[20:21], -v[92:93]
	v_fma_f64 v[106:107], s[10:11], v[96:97], v[104:105]
	v_fma_f64 v[104:105], v[96:97], s[10:11], -v[104:105]
	;; [unrolled: 2-line block ×5, first 2 shown]
	v_add_f64 v[94:95], v[48:49], v[94:95]
	v_mul_f64 v[100:101], v[98:99], s[20:21]
	s_mov_b32 s22, s18
	v_add_f64 v[92:93], v[48:49], v[92:93]
	v_add_f64 v[106:107], v[48:49], v[106:107]
	v_mul_f64 v[108:109], v[98:99], s[10:11]
	s_mov_b32 s14, s8
	v_add_f64 v[104:105], v[48:49], v[104:105]
	v_add_f64 v[114:115], v[48:49], v[114:115]
	v_mul_f64 v[152:153], v[98:99], s[16:17]
	s_mov_b32 s24, s2
	v_add_f64 v[112:113], v[48:49], v[112:113]
	v_add_f64 v[158:159], v[48:49], v[158:159]
	v_mul_f64 v[160:161], v[98:99], s[28:29]
	s_mov_b32 s30, s26
	v_add_f64 v[156:157], v[48:49], v[156:157]
	v_add_f64 v[164:165], v[48:49], v[164:165]
	v_mul_f64 v[98:99], v[98:99], s[36:37]
	s_mov_b32 s38, s34
	v_add_f64 v[48:49], v[48:49], v[88:89]
	v_add_f64 v[88:89], v[84:85], v[82:83]
	v_add_f64 v[82:83], v[84:85], -v[82:83]
	v_fma_f64 v[102:103], s[22:23], v[74:75], v[100:101]
	v_fmac_f64_e32 v[100:101], s[18:19], v[74:75]
	v_fma_f64 v[110:111], s[14:15], v[74:75], v[108:109]
	v_fmac_f64_e32 v[108:109], s[8:9], v[74:75]
	;; [unrolled: 2-line block ×5, first 2 shown]
	v_add_f64 v[74:75], v[90:91], v[78:79]
	v_mul_f64 v[84:85], v[82:83], s[8:9]
	v_add_f64 v[78:79], v[90:91], -v[78:79]
	v_fma_f64 v[90:91], s[10:11], v[74:75], v[84:85]
	v_add_f64 v[90:91], v[90:91], v[94:95]
	v_mul_f64 v[94:95], v[88:89], s[10:11]
	v_add_f64 v[100:101], v[50:51], v[100:101]
	v_fma_f64 v[96:97], s[14:15], v[78:79], v[94:95]
	v_fma_f64 v[84:85], v[74:75], s[10:11], -v[84:85]
	v_fmac_f64_e32 v[94:95], s[8:9], v[78:79]
	v_add_f64 v[84:85], v[84:85], v[92:93]
	v_add_f64 v[92:93], v[94:95], v[100:101]
	v_mul_f64 v[94:95], v[82:83], s[26:27]
	v_add_f64 v[102:103], v[50:51], v[102:103]
	v_add_f64 v[110:111], v[50:51], v[110:111]
	;; [unrolled: 1-line block ×9, first 2 shown]
	v_fma_f64 v[98:99], s[28:29], v[74:75], v[94:95]
	v_mul_f64 v[100:101], v[88:89], s[28:29]
	v_fma_f64 v[94:95], v[74:75], s[28:29], -v[94:95]
	v_add_f64 v[96:97], v[96:97], v[102:103]
	v_fma_f64 v[102:103], s[30:31], v[78:79], v[100:101]
	v_add_f64 v[94:95], v[94:95], v[104:105]
	v_fmac_f64_e32 v[100:101], s[26:27], v[78:79]
	v_mul_f64 v[104:105], v[82:83], s[38:39]
	v_add_f64 v[98:99], v[98:99], v[106:107]
	v_add_f64 v[100:101], v[100:101], v[108:109]
	v_fma_f64 v[106:107], s[36:37], v[74:75], v[104:105]
	v_mul_f64 v[108:109], v[88:89], s[36:37]
	v_fma_f64 v[104:105], v[74:75], s[36:37], -v[104:105]
	v_add_f64 v[102:103], v[102:103], v[110:111]
	v_fma_f64 v[110:111], s[34:35], v[78:79], v[108:109]
	v_add_f64 v[104:105], v[104:105], v[112:113]
	v_fmac_f64_e32 v[108:109], s[38:39], v[78:79]
	v_mul_f64 v[112:113], v[82:83], s[24:25]
	v_add_f64 v[106:107], v[106:107], v[114:115]
	v_add_f64 v[108:109], v[108:109], v[152:153]
	v_fma_f64 v[114:115], s[16:17], v[74:75], v[112:113]
	v_mul_f64 v[152:153], v[88:89], s[16:17]
	v_fma_f64 v[112:113], v[74:75], s[16:17], -v[112:113]
	v_mul_f64 v[82:83], v[82:83], s[22:23]
	v_mul_f64 v[88:89], v[88:89], s[20:21]
	v_add_f64 v[110:111], v[110:111], v[154:155]
	v_add_f64 v[114:115], v[114:115], v[158:159]
	v_fma_f64 v[154:155], s[2:3], v[78:79], v[152:153]
	v_add_f64 v[112:113], v[112:113], v[156:157]
	v_fmac_f64_e32 v[152:153], s[24:25], v[78:79]
	v_fma_f64 v[156:157], s[20:21], v[74:75], v[82:83]
	v_fma_f64 v[158:159], s[18:19], v[78:79], v[88:89]
	v_fma_f64 v[74:75], v[74:75], s[20:21], -v[82:83]
	v_fmac_f64_e32 v[88:89], s[22:23], v[78:79]
	v_add_f64 v[78:79], v[80:81], v[76:77]
	v_add_f64 v[76:77], v[80:81], -v[76:77]
	v_add_f64 v[48:49], v[74:75], v[48:49]
	v_add_f64 v[74:75], v[86:87], v[72:73]
	v_add_f64 v[72:73], v[86:87], -v[72:73]
	v_mul_f64 v[80:81], v[76:77], s[2:3]
	v_mul_f64 v[86:87], v[78:79], s[16:17]
	v_add_f64 v[50:51], v[88:89], v[50:51]
	v_fma_f64 v[82:83], s[16:17], v[74:75], v[80:81]
	v_fma_f64 v[88:89], s[24:25], v[72:73], v[86:87]
	v_fma_f64 v[80:81], v[74:75], s[16:17], -v[80:81]
	v_fmac_f64_e32 v[86:87], s[2:3], v[72:73]
	v_add_f64 v[80:81], v[80:81], v[84:85]
	v_add_f64 v[84:85], v[86:87], v[92:93]
	v_mul_f64 v[86:87], v[76:77], s[38:39]
	v_add_f64 v[82:83], v[82:83], v[90:91]
	v_fma_f64 v[90:91], s[36:37], v[74:75], v[86:87]
	v_fma_f64 v[86:87], v[74:75], s[36:37], -v[86:87]
	v_add_f64 v[86:87], v[86:87], v[94:95]
	v_mul_f64 v[94:95], v[76:77], s[14:15]
	v_add_f64 v[90:91], v[90:91], v[98:99]
	v_mul_f64 v[92:93], v[78:79], s[36:37]
	v_fma_f64 v[98:99], s[10:11], v[74:75], v[94:95]
	v_fma_f64 v[94:95], v[74:75], s[10:11], -v[94:95]
	v_add_f64 v[88:89], v[88:89], v[96:97]
	v_fma_f64 v[96:97], s[34:35], v[72:73], v[92:93]
	v_fmac_f64_e32 v[92:93], s[38:39], v[72:73]
	v_add_f64 v[94:95], v[94:95], v[104:105]
	v_mul_f64 v[104:105], v[76:77], s[18:19]
	v_add_f64 v[92:93], v[92:93], v[100:101]
	v_add_f64 v[98:99], v[98:99], v[106:107]
	v_mul_f64 v[100:101], v[78:79], s[10:11]
	v_fma_f64 v[106:107], s[20:21], v[74:75], v[104:105]
	v_fma_f64 v[104:105], v[74:75], s[20:21], -v[104:105]
	v_mul_f64 v[76:77], v[76:77], s[26:27]
	v_add_f64 v[96:97], v[96:97], v[102:103]
	v_fma_f64 v[102:103], s[8:9], v[72:73], v[100:101]
	v_fmac_f64_e32 v[100:101], s[14:15], v[72:73]
	v_add_f64 v[104:105], v[104:105], v[112:113]
	v_fma_f64 v[112:113], s[28:29], v[74:75], v[76:77]
	v_fma_f64 v[74:75], v[74:75], s[28:29], -v[76:77]
	v_add_f64 v[100:101], v[100:101], v[108:109]
	v_mul_f64 v[108:109], v[78:79], s[20:21]
	v_mul_f64 v[78:79], v[78:79], s[28:29]
	v_add_f64 v[48:49], v[74:75], v[48:49]
	v_add_f64 v[74:75], v[66:67], v[70:71]
	v_add_f64 v[66:67], v[66:67], -v[70:71]
	v_add_f64 v[102:103], v[102:103], v[110:111]
	v_add_f64 v[106:107], v[106:107], v[114:115]
	v_fma_f64 v[110:111], s[22:23], v[72:73], v[108:109]
	v_fmac_f64_e32 v[108:109], s[18:19], v[72:73]
	v_fma_f64 v[114:115], s[30:31], v[72:73], v[78:79]
	v_fmac_f64_e32 v[78:79], s[26:27], v[72:73]
	v_add_f64 v[72:73], v[64:65], v[68:69]
	v_add_f64 v[64:65], v[64:65], -v[68:69]
	v_mul_f64 v[68:69], v[66:67], s[26:27]
	v_fma_f64 v[70:71], s[28:29], v[72:73], v[68:69]
	v_mul_f64 v[76:77], v[74:75], s[28:29]
	v_fma_f64 v[68:69], v[72:73], s[28:29], -v[68:69]
	v_add_f64 v[50:51], v[78:79], v[50:51]
	v_fma_f64 v[78:79], s[30:31], v[64:65], v[76:77]
	v_add_f64 v[68:69], v[68:69], v[80:81]
	v_fmac_f64_e32 v[76:77], s[26:27], v[64:65]
	v_mul_f64 v[80:81], v[66:67], s[24:25]
	v_add_f64 v[70:71], v[70:71], v[82:83]
	v_add_f64 v[76:77], v[76:77], v[84:85]
	v_fma_f64 v[82:83], s[16:17], v[72:73], v[80:81]
	v_mul_f64 v[84:85], v[74:75], s[16:17]
	v_fma_f64 v[80:81], v[72:73], s[16:17], -v[80:81]
	v_add_f64 v[78:79], v[78:79], v[88:89]
	v_fma_f64 v[88:89], s[2:3], v[64:65], v[84:85]
	v_add_f64 v[80:81], v[80:81], v[86:87]
	v_fmac_f64_e32 v[84:85], s[24:25], v[64:65]
	v_mul_f64 v[86:87], v[66:67], s[18:19]
	v_add_f64 v[82:83], v[82:83], v[90:91]
	v_add_f64 v[84:85], v[84:85], v[92:93]
	;; [unrolled: 10-line block ×3, first 2 shown]
	v_add_f64 v[156:157], v[156:157], v[164:165]
	v_add_f64 v[90:91], v[90:91], v[98:99]
	;; [unrolled: 1-line block ×3, first 2 shown]
	v_fma_f64 v[98:99], s[36:37], v[72:73], v[94:95]
	v_mul_f64 v[100:101], v[74:75], s[36:37]
	v_fma_f64 v[94:95], v[72:73], s[36:37], -v[94:95]
	v_mul_f64 v[66:67], v[66:67], s[14:15]
	v_add_f64 v[158:159], v[158:159], v[166:167]
	v_add_f64 v[110:111], v[110:111], v[154:155]
	;; [unrolled: 1-line block ×5, first 2 shown]
	v_fma_f64 v[102:103], s[38:39], v[64:65], v[100:101]
	v_add_f64 v[94:95], v[94:95], v[104:105]
	v_fmac_f64_e32 v[100:101], s[34:35], v[64:65]
	v_fma_f64 v[104:105], s[10:11], v[72:73], v[66:67]
	v_mul_f64 v[74:75], v[74:75], s[10:11]
	v_fma_f64 v[66:67], v[72:73], s[10:11], -v[66:67]
	v_add_f64 v[154:155], v[54:55], -v[58:59]
	v_add_f64 v[114:115], v[114:115], v[158:159]
	v_add_f64 v[98:99], v[98:99], v[106:107]
	;; [unrolled: 1-line block ×4, first 2 shown]
	v_fma_f64 v[106:107], s[8:9], v[64:65], v[74:75]
	v_add_f64 v[108:109], v[66:67], v[48:49]
	v_fmac_f64_e32 v[74:75], s[14:15], v[64:65]
	v_add_f64 v[112:113], v[52:53], v[56:57]
	v_mul_f64 v[48:49], v[154:155], s[34:35]
	v_add_f64 v[102:103], v[102:103], v[110:111]
	v_add_f64 v[106:107], v[106:107], v[114:115]
	;; [unrolled: 1-line block ×4, first 2 shown]
	v_fma_f64 v[50:51], s[36:37], v[112:113], v[48:49]
	v_add_f64 v[152:153], v[52:53], -v[56:57]
	v_add_f64 v[64:65], v[50:51], v[70:71]
	v_mul_f64 v[50:51], v[114:115], s[36:37]
	v_fma_f64 v[52:53], s[38:39], v[152:153], v[50:51]
	v_fma_f64 v[48:49], v[112:113], s[36:37], -v[48:49]
	v_add_f64 v[66:67], v[52:53], v[78:79]
	v_add_f64 v[52:53], v[48:49], v[68:69]
	v_fmac_f64_e32 v[50:51], s[34:35], v[152:153]
	v_mul_f64 v[48:49], v[154:155], s[22:23]
	v_add_f64 v[54:55], v[50:51], v[76:77]
	v_fma_f64 v[50:51], s[20:21], v[112:113], v[48:49]
	v_add_f64 v[68:69], v[50:51], v[82:83]
	v_mul_f64 v[50:51], v[114:115], s[20:21]
	v_fma_f64 v[56:57], s[18:19], v[152:153], v[50:51]
	v_fma_f64 v[48:49], v[112:113], s[20:21], -v[48:49]
	v_add_f64 v[70:71], v[56:57], v[88:89]
	v_add_f64 v[56:57], v[48:49], v[80:81]
	v_fmac_f64_e32 v[50:51], s[22:23], v[152:153]
	v_mul_f64 v[48:49], v[154:155], s[26:27]
	v_add_f64 v[58:59], v[50:51], v[84:85]
	v_fma_f64 v[50:51], s[28:29], v[112:113], v[48:49]
	v_add_f64 v[72:73], v[50:51], v[90:91]
	v_mul_f64 v[50:51], v[114:115], s[28:29]
	v_fma_f64 v[48:49], v[112:113], s[28:29], -v[48:49]
	v_mul_f64 v[80:81], v[154:155], s[14:15]
	v_mul_f64 v[82:83], v[114:115], s[10:11]
	;; [unrolled: 1-line block ×4, first 2 shown]
	v_fma_f64 v[74:75], s[30:31], v[152:153], v[50:51]
	v_add_f64 v[48:49], v[48:49], v[86:87]
	v_fma_f64 v[76:77], s[10:11], v[112:113], v[80:81]
	v_fma_f64 v[78:79], s[8:9], v[152:153], v[82:83]
	v_fma_f64 v[80:81], v[112:113], s[10:11], -v[80:81]
	v_fmac_f64_e32 v[82:83], s[14:15], v[152:153]
	v_fma_f64 v[84:85], s[16:17], v[112:113], v[88:89]
	v_fma_f64 v[86:87], s[24:25], v[152:153], v[90:91]
	v_fma_f64 v[88:89], v[112:113], s[16:17], -v[88:89]
	v_fmac_f64_e32 v[90:91], s[2:3], v[152:153]
	v_add_f64 v[74:75], v[74:75], v[96:97]
	v_fmac_f64_e32 v[50:51], s[26:27], v[152:153]
	v_add_f64 v[76:77], v[76:77], v[98:99]
	v_add_f64 v[78:79], v[78:79], v[102:103]
	;; [unrolled: 1-line block ×9, first 2 shown]
	s_barrier
	ds_write_b128 v210, v[60:63]
	ds_write_b128 v210, v[64:67] offset:528
	ds_write_b128 v210, v[68:71] offset:1056
	;; [unrolled: 1-line block ×10, first 2 shown]
	s_waitcnt lgkmcnt(0)
	s_barrier
	ds_read_b128 v[64:67], v200
	ds_read_b128 v[60:63], v200 offset:2112
	ds_read_b128 v[88:91], v200 offset:5808
	;; [unrolled: 1-line block ×7, first 2 shown]
	s_and_saveexec_b64 s[2:3], s[0:1]
	s_cbranch_execz .LBB0_15
; %bb.14:
	ds_read_b128 v[48:51], v200 offset:4224
	ds_read_b128 v[56:59], v200 offset:10032
	;; [unrolled: 1-line block ×4, first 2 shown]
.LBB0_15:
	s_or_b64 exec, exec, s[2:3]
	s_waitcnt lgkmcnt(5)
	v_mul_f64 v[92:93], v[134:135], v[90:91]
	v_fmac_f64_e32 v[92:93], v[132:133], v[88:89]
	v_mul_f64 v[88:89], v[134:135], v[88:89]
	v_fma_f64 v[88:89], v[132:133], v[90:91], -v[88:89]
	s_waitcnt lgkmcnt(3)
	v_mul_f64 v[90:91], v[138:139], v[86:87]
	v_fmac_f64_e32 v[90:91], v[136:137], v[84:85]
	v_mul_f64 v[84:85], v[138:139], v[84:85]
	v_fma_f64 v[84:85], v[136:137], v[86:87], -v[84:85]
	;; [unrolled: 5-line block ×3, first 2 shown]
	v_mul_f64 v[82:83], v[142:143], v[78:79]
	v_mul_f64 v[96:97], v[150:151], v[74:75]
	s_waitcnt lgkmcnt(0)
	v_mul_f64 v[100:101], v[146:147], v[70:71]
	v_fmac_f64_e32 v[82:83], v[140:141], v[76:77]
	v_mul_f64 v[76:77], v[142:143], v[76:77]
	v_fmac_f64_e32 v[96:97], v[148:149], v[72:73]
	v_mul_f64 v[72:73], v[150:151], v[72:73]
	v_fmac_f64_e32 v[100:101], v[144:145], v[68:69]
	v_mul_f64 v[68:69], v[146:147], v[68:69]
	v_fma_f64 v[94:95], v[140:141], v[78:79], -v[76:77]
	v_fma_f64 v[98:99], v[148:149], v[74:75], -v[72:73]
	;; [unrolled: 1-line block ×3, first 2 shown]
	v_add_f64 v[76:77], v[64:65], -v[90:91]
	v_add_f64 v[74:75], v[92:93], -v[86:87]
	;; [unrolled: 1-line block ×3, first 2 shown]
	v_fma_f64 v[68:69], v[64:65], 2.0, -v[76:77]
	v_add_f64 v[72:73], v[88:89], -v[80:81]
	v_fma_f64 v[64:65], v[92:93], 2.0, -v[74:75]
	v_add_f64 v[90:91], v[62:63], -v[98:99]
	v_add_f64 v[92:93], v[94:95], -v[102:103]
	v_fma_f64 v[70:71], v[66:67], 2.0, -v[78:79]
	v_fma_f64 v[66:67], v[88:89], 2.0, -v[72:73]
	v_add_f64 v[88:89], v[60:61], -v[96:97]
	v_fma_f64 v[84:85], v[62:63], 2.0, -v[90:91]
	v_add_f64 v[86:87], v[82:83], -v[100:101]
	;; [unrolled: 2-line block ×3, first 2 shown]
	v_add_f64 v[66:67], v[70:71], -v[66:67]
	v_fma_f64 v[80:81], v[60:61], 2.0, -v[88:89]
	v_fma_f64 v[60:61], v[82:83], 2.0, -v[86:87]
	v_add_f64 v[62:63], v[84:85], -v[62:63]
	v_fma_f64 v[68:69], v[68:69], 2.0, -v[64:65]
	v_fma_f64 v[70:71], v[70:71], 2.0, -v[66:67]
	v_add_f64 v[72:73], v[76:77], v[72:73]
	v_add_f64 v[74:75], v[78:79], -v[74:75]
	v_add_f64 v[60:61], v[80:81], -v[60:61]
	v_fma_f64 v[82:83], v[84:85], 2.0, -v[62:63]
	v_add_f64 v[84:85], v[88:89], v[92:93]
	v_add_f64 v[86:87], v[90:91], -v[86:87]
	v_fma_f64 v[76:77], v[76:77], 2.0, -v[72:73]
	v_fma_f64 v[78:79], v[78:79], 2.0, -v[74:75]
	;; [unrolled: 1-line block ×5, first 2 shown]
	ds_write_b128 v200, v[68:71]
	ds_write_b128 v200, v[76:79] offset:5808
	ds_write_b128 v200, v[64:67] offset:11616
	;; [unrolled: 1-line block ×7, first 2 shown]
	s_and_saveexec_b64 s[2:3], s[0:1]
	s_cbranch_execz .LBB0_17
; %bb.16:
	v_mul_f64 v[60:61], v[126:127], v[52:53]
	v_fma_f64 v[60:61], v[124:125], v[54:55], -v[60:61]
	v_mul_f64 v[54:55], v[126:127], v[54:55]
	v_add_f64 v[66:67], v[50:51], -v[60:61]
	v_mul_f64 v[60:61], v[122:123], v[46:47]
	v_fmac_f64_e32 v[54:55], v[124:125], v[52:53]
	v_fmac_f64_e32 v[60:61], v[120:121], v[44:45]
	v_add_f64 v[52:53], v[48:49], -v[54:55]
	v_mul_f64 v[54:55], v[118:119], v[56:57]
	v_mul_f64 v[44:45], v[122:123], v[44:45]
	;; [unrolled: 1-line block ×3, first 2 shown]
	v_fma_f64 v[54:55], v[116:117], v[58:59], -v[54:55]
	v_fma_f64 v[44:45], v[120:121], v[46:47], -v[44:45]
	v_fmac_f64_e32 v[68:69], v[116:117], v[56:57]
	v_add_f64 v[44:45], v[54:55], -v[44:45]
	v_add_f64 v[70:71], v[68:69], -v[60:61]
	v_add_f64 v[58:59], v[52:53], v[44:45]
	v_fma_f64 v[50:51], v[50:51], 2.0, -v[66:67]
	v_fma_f64 v[44:45], v[54:55], 2.0, -v[44:45]
	v_add_f64 v[46:47], v[50:51], -v[44:45]
	v_fma_f64 v[48:49], v[48:49], 2.0, -v[52:53]
	v_fma_f64 v[44:45], v[68:69], 2.0, -v[70:71]
	v_add_f64 v[44:45], v[48:49], -v[44:45]
	v_add_f64 v[60:61], v[66:67], -v[70:71]
	v_fma_f64 v[50:51], v[50:51], 2.0, -v[46:47]
	v_fma_f64 v[48:49], v[48:49], 2.0, -v[44:45]
	;; [unrolled: 1-line block ×4, first 2 shown]
	ds_write_b128 v200, v[48:51] offset:4224
	ds_write_b128 v200, v[62:65] offset:10032
	;; [unrolled: 1-line block ×4, first 2 shown]
.LBB0_17:
	s_or_b64 exec, exec, s[2:3]
	s_waitcnt lgkmcnt(0)
	s_barrier
	ds_read_b128 v[44:47], v200
	v_mad_u64_u32 v[58:59], s[0:1], s6, v204, 0
	v_mov_b32_e32 v48, v59
	v_mad_u64_u32 v[48:49], s[0:1], s7, v204, v[48:49]
	v_mov_b32_e32 v59, v48
	ds_read_b128 v[48:51], v200 offset:2112
	s_waitcnt lgkmcnt(1)
	v_mul_f64 v[52:53], v[18:19], v[46:47]
	s_mov_b32 s0, 0x3a88d0c0
	v_mul_f64 v[18:19], v[18:19], v[44:45]
	v_fmac_f64_e32 v[52:53], v[16:17], v[44:45]
	s_mov_b32 s1, 0x3f469147
	v_fma_f64 v[16:17], v[16:17], v[46:47], -v[18:19]
	v_mul_f64 v[54:55], v[16:17], s[0:1]
	v_mad_u64_u32 v[16:17], s[2:3], s4, v202, 0
	v_mov_b32_e32 v18, v17
	v_mov_b32_e32 v56, s12
	;; [unrolled: 1-line block ×3, first 2 shown]
	v_mad_u64_u32 v[18:19], s[2:3], s5, v202, v[18:19]
	v_mov_b32_e32 v17, v18
	v_lshl_add_u64 v[18:19], v[58:59], 4, v[56:57]
	v_lshl_add_u64 v[44:45], v[16:17], 4, v[18:19]
	s_waitcnt lgkmcnt(0)
	v_mul_f64 v[16:17], v[2:3], v[50:51]
	v_mul_f64 v[2:3], v[2:3], v[48:49]
	v_fmac_f64_e32 v[16:17], v[0:1], v[48:49]
	v_fma_f64 v[0:1], v[0:1], v[50:51], -v[2:3]
	v_mov_b32_e32 v50, 0x840
	v_mul_f64 v[18:19], v[0:1], s[0:1]
	v_mad_u64_u32 v[48:49], s[2:3], s4, v50, v[44:45]
	ds_read_b128 v[0:3], v200 offset:4224
	s_mul_i32 s2, s5, 0x840
	v_mul_f64 v[52:53], v[52:53], s[0:1]
	v_mul_f64 v[16:17], v[16:17], s[0:1]
	v_add_u32_e32 v49, s2, v49
	global_store_dwordx4 v[44:45], v[52:55], off
	global_store_dwordx4 v[48:49], v[16:19], off
	ds_read_b128 v[16:19], v200 offset:6336
	s_waitcnt lgkmcnt(1)
	v_mul_f64 v[44:45], v[22:23], v[2:3]
	v_fmac_f64_e32 v[44:45], v[20:21], v[0:1]
	v_mul_f64 v[0:1], v[22:23], v[0:1]
	v_fma_f64 v[0:1], v[20:21], v[2:3], -v[0:1]
	v_mul_f64 v[46:47], v[0:1], s[0:1]
	v_mad_u64_u32 v[20:21], s[6:7], s4, v50, v[48:49]
	s_waitcnt lgkmcnt(0)
	v_mul_f64 v[0:1], v[10:11], v[18:19]
	v_mul_f64 v[2:3], v[10:11], v[16:17]
	;; [unrolled: 1-line block ×3, first 2 shown]
	v_add_u32_e32 v21, s2, v21
	v_fmac_f64_e32 v[0:1], v[8:9], v[16:17]
	v_fma_f64 v[2:3], v[8:9], v[18:19], -v[2:3]
	ds_read_b128 v[8:11], v200 offset:8448
	global_store_dwordx4 v[20:21], v[44:47], off
	v_mad_u64_u32 v[20:21], s[6:7], s4, v50, v[20:21]
	v_mul_f64 v[0:1], v[0:1], s[0:1]
	v_mul_f64 v[2:3], v[2:3], s[0:1]
	v_add_u32_e32 v21, s2, v21
	global_store_dwordx4 v[20:21], v[0:3], off
	ds_read_b128 v[0:3], v200 offset:10560
	s_waitcnt lgkmcnt(1)
	v_mul_f64 v[16:17], v[30:31], v[10:11]
	v_fmac_f64_e32 v[16:17], v[28:29], v[8:9]
	v_mul_f64 v[8:9], v[30:31], v[8:9]
	v_fma_f64 v[8:9], v[28:29], v[10:11], -v[8:9]
	v_mul_f64 v[18:19], v[8:9], s[0:1]
	s_waitcnt lgkmcnt(0)
	v_mul_f64 v[8:9], v[14:15], v[2:3]
	v_fmac_f64_e32 v[8:9], v[12:13], v[0:1]
	v_mul_f64 v[0:1], v[14:15], v[0:1]
	v_mad_u64_u32 v[20:21], s[6:7], s4, v50, v[20:21]
	v_fma_f64 v[0:1], v[12:13], v[2:3], -v[0:1]
	v_mul_f64 v[16:17], v[16:17], s[0:1]
	v_add_u32_e32 v21, s2, v21
	v_mul_f64 v[10:11], v[0:1], s[0:1]
	ds_read_b128 v[0:3], v200 offset:12672
	global_store_dwordx4 v[20:21], v[16:19], off
	v_mul_f64 v[8:9], v[8:9], s[0:1]
	s_nop 0
	v_mad_u64_u32 v[16:17], s[6:7], s4, v50, v[20:21]
	v_add_u32_e32 v17, s2, v17
	global_store_dwordx4 v[16:17], v[8:11], off
	ds_read_b128 v[8:11], v200 offset:14784
	s_waitcnt lgkmcnt(1)
	v_mul_f64 v[12:13], v[6:7], v[2:3]
	v_fmac_f64_e32 v[12:13], v[4:5], v[0:1]
	v_mul_f64 v[0:1], v[6:7], v[0:1]
	v_fma_f64 v[0:1], v[4:5], v[2:3], -v[0:1]
	v_mad_u64_u32 v[16:17], s[6:7], s4, v50, v[16:17]
	v_mul_f64 v[12:13], v[12:13], s[0:1]
	v_mul_f64 v[14:15], v[0:1], s[0:1]
	v_add_u32_e32 v17, s2, v17
	s_waitcnt lgkmcnt(0)
	v_mul_f64 v[0:1], v[26:27], v[10:11]
	v_mul_f64 v[2:3], v[26:27], v[8:9]
	ds_read_b128 v[4:7], v200 offset:16896
	global_store_dwordx4 v[16:17], v[12:15], off
	v_fmac_f64_e32 v[0:1], v[24:25], v[8:9]
	v_fma_f64 v[2:3], v[24:25], v[10:11], -v[2:3]
	v_mad_u64_u32 v[12:13], s[6:7], s4, v50, v[16:17]
	v_mul_f64 v[0:1], v[0:1], s[0:1]
	v_mul_f64 v[2:3], v[2:3], s[0:1]
	v_add_u32_e32 v13, s2, v13
	global_store_dwordx4 v[12:13], v[0:3], off
	ds_read_b128 v[0:3], v200 offset:19008
	s_waitcnt lgkmcnt(1)
	v_mul_f64 v[8:9], v[42:43], v[6:7]
	v_fmac_f64_e32 v[8:9], v[40:41], v[4:5]
	v_mul_f64 v[4:5], v[42:43], v[4:5]
	v_fma_f64 v[4:5], v[40:41], v[6:7], -v[4:5]
	v_mul_f64 v[10:11], v[4:5], s[0:1]
	s_waitcnt lgkmcnt(0)
	v_mul_f64 v[4:5], v[34:35], v[2:3]
	v_fmac_f64_e32 v[4:5], v[32:33], v[0:1]
	v_mul_f64 v[0:1], v[34:35], v[0:1]
	v_fma_f64 v[0:1], v[32:33], v[2:3], -v[0:1]
	v_mul_f64 v[6:7], v[0:1], s[0:1]
	ds_read_b128 v[0:3], v200 offset:21120
	v_mad_u64_u32 v[12:13], s[6:7], s4, v50, v[12:13]
	v_mul_f64 v[8:9], v[8:9], s[0:1]
	v_add_u32_e32 v13, s2, v13
	global_store_dwordx4 v[12:13], v[8:11], off
	v_mul_f64 v[4:5], v[4:5], s[0:1]
	s_nop 0
	v_mad_u64_u32 v[8:9], s[6:7], s4, v50, v[12:13]
	v_add_u32_e32 v9, s2, v9
	global_store_dwordx4 v[8:9], v[4:7], off
	s_waitcnt lgkmcnt(0)
	s_nop 0
	v_mul_f64 v[4:5], v[38:39], v[2:3]
	v_fmac_f64_e32 v[4:5], v[36:37], v[0:1]
	v_mul_f64 v[0:1], v[38:39], v[0:1]
	v_fma_f64 v[0:1], v[36:37], v[2:3], -v[0:1]
	v_mul_f64 v[4:5], v[4:5], s[0:1]
	v_mul_f64 v[6:7], v[0:1], s[0:1]
	v_mad_u64_u32 v[0:1], s[0:1], s4, v50, v[8:9]
	v_add_u32_e32 v1, s2, v1
	global_store_dwordx4 v[0:1], v[4:7], off
.LBB0_18:
	s_endpgm
	.section	.rodata,"a",@progbits
	.p2align	6, 0x0
	.amdhsa_kernel bluestein_single_back_len1452_dim1_dp_op_CI_CI
		.amdhsa_group_segment_fixed_size 23232
		.amdhsa_private_segment_fixed_size 0
		.amdhsa_kernarg_size 104
		.amdhsa_user_sgpr_count 2
		.amdhsa_user_sgpr_dispatch_ptr 0
		.amdhsa_user_sgpr_queue_ptr 0
		.amdhsa_user_sgpr_kernarg_segment_ptr 1
		.amdhsa_user_sgpr_dispatch_id 0
		.amdhsa_user_sgpr_kernarg_preload_length 0
		.amdhsa_user_sgpr_kernarg_preload_offset 0
		.amdhsa_user_sgpr_private_segment_size 0
		.amdhsa_uses_dynamic_stack 0
		.amdhsa_enable_private_segment 0
		.amdhsa_system_sgpr_workgroup_id_x 1
		.amdhsa_system_sgpr_workgroup_id_y 0
		.amdhsa_system_sgpr_workgroup_id_z 0
		.amdhsa_system_sgpr_workgroup_info 0
		.amdhsa_system_vgpr_workitem_id 0
		.amdhsa_next_free_vgpr 252
		.amdhsa_next_free_sgpr 40
		.amdhsa_accum_offset 252
		.amdhsa_reserve_vcc 1
		.amdhsa_float_round_mode_32 0
		.amdhsa_float_round_mode_16_64 0
		.amdhsa_float_denorm_mode_32 3
		.amdhsa_float_denorm_mode_16_64 3
		.amdhsa_dx10_clamp 1
		.amdhsa_ieee_mode 1
		.amdhsa_fp16_overflow 0
		.amdhsa_tg_split 0
		.amdhsa_exception_fp_ieee_invalid_op 0
		.amdhsa_exception_fp_denorm_src 0
		.amdhsa_exception_fp_ieee_div_zero 0
		.amdhsa_exception_fp_ieee_overflow 0
		.amdhsa_exception_fp_ieee_underflow 0
		.amdhsa_exception_fp_ieee_inexact 0
		.amdhsa_exception_int_div_zero 0
	.end_amdhsa_kernel
	.text
.Lfunc_end0:
	.size	bluestein_single_back_len1452_dim1_dp_op_CI_CI, .Lfunc_end0-bluestein_single_back_len1452_dim1_dp_op_CI_CI
                                        ; -- End function
	.section	.AMDGPU.csdata,"",@progbits
; Kernel info:
; codeLenInByte = 18108
; NumSgprs: 46
; NumVgprs: 252
; NumAgprs: 0
; TotalNumVgprs: 252
; ScratchSize: 0
; MemoryBound: 0
; FloatMode: 240
; IeeeMode: 1
; LDSByteSize: 23232 bytes/workgroup (compile time only)
; SGPRBlocks: 5
; VGPRBlocks: 31
; NumSGPRsForWavesPerEU: 46
; NumVGPRsForWavesPerEU: 252
; AccumOffset: 252
; Occupancy: 2
; WaveLimiterHint : 1
; COMPUTE_PGM_RSRC2:SCRATCH_EN: 0
; COMPUTE_PGM_RSRC2:USER_SGPR: 2
; COMPUTE_PGM_RSRC2:TRAP_HANDLER: 0
; COMPUTE_PGM_RSRC2:TGID_X_EN: 1
; COMPUTE_PGM_RSRC2:TGID_Y_EN: 0
; COMPUTE_PGM_RSRC2:TGID_Z_EN: 0
; COMPUTE_PGM_RSRC2:TIDIG_COMP_CNT: 0
; COMPUTE_PGM_RSRC3_GFX90A:ACCUM_OFFSET: 62
; COMPUTE_PGM_RSRC3_GFX90A:TG_SPLIT: 0
	.text
	.p2alignl 6, 3212836864
	.fill 256, 4, 3212836864
	.type	__hip_cuid_114366b0b1f87530,@object ; @__hip_cuid_114366b0b1f87530
	.section	.bss,"aw",@nobits
	.globl	__hip_cuid_114366b0b1f87530
__hip_cuid_114366b0b1f87530:
	.byte	0                               ; 0x0
	.size	__hip_cuid_114366b0b1f87530, 1

	.ident	"AMD clang version 19.0.0git (https://github.com/RadeonOpenCompute/llvm-project roc-6.4.0 25133 c7fe45cf4b819c5991fe208aaa96edf142730f1d)"
	.section	".note.GNU-stack","",@progbits
	.addrsig
	.addrsig_sym __hip_cuid_114366b0b1f87530
	.amdgpu_metadata
---
amdhsa.kernels:
  - .agpr_count:     0
    .args:
      - .actual_access:  read_only
        .address_space:  global
        .offset:         0
        .size:           8
        .value_kind:     global_buffer
      - .actual_access:  read_only
        .address_space:  global
        .offset:         8
        .size:           8
        .value_kind:     global_buffer
      - .actual_access:  read_only
        .address_space:  global
        .offset:         16
        .size:           8
        .value_kind:     global_buffer
      - .actual_access:  read_only
        .address_space:  global
        .offset:         24
        .size:           8
        .value_kind:     global_buffer
      - .actual_access:  read_only
        .address_space:  global
        .offset:         32
        .size:           8
        .value_kind:     global_buffer
      - .offset:         40
        .size:           8
        .value_kind:     by_value
      - .address_space:  global
        .offset:         48
        .size:           8
        .value_kind:     global_buffer
      - .address_space:  global
        .offset:         56
        .size:           8
        .value_kind:     global_buffer
      - .address_space:  global
        .offset:         64
        .size:           8
        .value_kind:     global_buffer
      - .address_space:  global
        .offset:         72
        .size:           8
        .value_kind:     global_buffer
      - .offset:         80
        .size:           4
        .value_kind:     by_value
      - .address_space:  global
        .offset:         88
        .size:           8
        .value_kind:     global_buffer
      - .address_space:  global
        .offset:         96
        .size:           8
        .value_kind:     global_buffer
    .group_segment_fixed_size: 23232
    .kernarg_segment_align: 8
    .kernarg_segment_size: 104
    .language:       OpenCL C
    .language_version:
      - 2
      - 0
    .max_flat_workgroup_size: 132
    .name:           bluestein_single_back_len1452_dim1_dp_op_CI_CI
    .private_segment_fixed_size: 0
    .sgpr_count:     46
    .sgpr_spill_count: 0
    .symbol:         bluestein_single_back_len1452_dim1_dp_op_CI_CI.kd
    .uniform_work_group_size: 1
    .uses_dynamic_stack: false
    .vgpr_count:     252
    .vgpr_spill_count: 0
    .wavefront_size: 64
amdhsa.target:   amdgcn-amd-amdhsa--gfx950
amdhsa.version:
  - 1
  - 2
...

	.end_amdgpu_metadata
